;; amdgpu-corpus repo=ROCm/rocFFT kind=compiled arch=gfx1201 opt=O3
	.text
	.amdgcn_target "amdgcn-amd-amdhsa--gfx1201"
	.amdhsa_code_object_version 6
	.protected	fft_rtc_fwd_len1248_factors_2_2_13_2_3_2_2_wgs_52_tpt_52_halfLds_sp_ip_CI_sbrr_dirReg ; -- Begin function fft_rtc_fwd_len1248_factors_2_2_13_2_3_2_2_wgs_52_tpt_52_halfLds_sp_ip_CI_sbrr_dirReg
	.globl	fft_rtc_fwd_len1248_factors_2_2_13_2_3_2_2_wgs_52_tpt_52_halfLds_sp_ip_CI_sbrr_dirReg
	.p2align	8
	.type	fft_rtc_fwd_len1248_factors_2_2_13_2_3_2_2_wgs_52_tpt_52_halfLds_sp_ip_CI_sbrr_dirReg,@function
fft_rtc_fwd_len1248_factors_2_2_13_2_3_2_2_wgs_52_tpt_52_halfLds_sp_ip_CI_sbrr_dirReg: ; @fft_rtc_fwd_len1248_factors_2_2_13_2_3_2_2_wgs_52_tpt_52_halfLds_sp_ip_CI_sbrr_dirReg
; %bb.0:
	s_clause 0x2
	s_load_b64 s[12:13], s[0:1], 0x18
	s_load_b128 s[4:7], s[0:1], 0x0
	s_load_b64 s[10:11], s[0:1], 0x50
	v_mul_u32_u24_e32 v1, 0x4ed, v0
	v_mov_b32_e32 v3, 0
	s_delay_alu instid0(VALU_DEP_2) | instskip(NEXT) | instid1(VALU_DEP_1)
	v_lshrrev_b32_e32 v1, 16, v1
	v_add_nc_u32_e32 v5, ttmp9, v1
	v_mov_b32_e32 v1, 0
	v_mov_b32_e32 v2, 0
	;; [unrolled: 1-line block ×3, first 2 shown]
	s_wait_kmcnt 0x0
	s_load_b64 s[8:9], s[12:13], 0x0
	v_cmp_lt_u64_e64 s2, s[6:7], 2
	s_delay_alu instid0(VALU_DEP_1)
	s_and_b32 vcc_lo, exec_lo, s2
	s_cbranch_vccnz .LBB0_8
; %bb.1:
	s_load_b64 s[2:3], s[0:1], 0x10
	v_mov_b32_e32 v1, 0
	v_mov_b32_e32 v2, 0
	s_add_nc_u64 s[14:15], s[12:13], 8
	s_mov_b64 s[16:17], 1
	s_wait_kmcnt 0x0
	s_add_nc_u64 s[18:19], s[2:3], 8
	s_mov_b32 s3, 0
.LBB0_2:                                ; =>This Inner Loop Header: Depth=1
	s_load_b64 s[20:21], s[18:19], 0x0
                                        ; implicit-def: $vgpr7_vgpr8
	s_mov_b32 s2, exec_lo
	s_wait_kmcnt 0x0
	v_or_b32_e32 v4, s21, v6
	s_delay_alu instid0(VALU_DEP_1)
	v_cmpx_ne_u64_e32 0, v[3:4]
	s_wait_alu 0xfffe
	s_xor_b32 s22, exec_lo, s2
	s_cbranch_execz .LBB0_4
; %bb.3:                                ;   in Loop: Header=BB0_2 Depth=1
	s_cvt_f32_u32 s2, s20
	s_cvt_f32_u32 s23, s21
	s_sub_nc_u64 s[26:27], 0, s[20:21]
	s_wait_alu 0xfffe
	s_delay_alu instid0(SALU_CYCLE_1) | instskip(SKIP_1) | instid1(SALU_CYCLE_2)
	s_fmamk_f32 s2, s23, 0x4f800000, s2
	s_wait_alu 0xfffe
	v_s_rcp_f32 s2, s2
	s_delay_alu instid0(TRANS32_DEP_1) | instskip(SKIP_1) | instid1(SALU_CYCLE_2)
	s_mul_f32 s2, s2, 0x5f7ffffc
	s_wait_alu 0xfffe
	s_mul_f32 s23, s2, 0x2f800000
	s_wait_alu 0xfffe
	s_delay_alu instid0(SALU_CYCLE_2) | instskip(SKIP_1) | instid1(SALU_CYCLE_2)
	s_trunc_f32 s23, s23
	s_wait_alu 0xfffe
	s_fmamk_f32 s2, s23, 0xcf800000, s2
	s_cvt_u32_f32 s25, s23
	s_wait_alu 0xfffe
	s_delay_alu instid0(SALU_CYCLE_1) | instskip(SKIP_1) | instid1(SALU_CYCLE_2)
	s_cvt_u32_f32 s24, s2
	s_wait_alu 0xfffe
	s_mul_u64 s[28:29], s[26:27], s[24:25]
	s_wait_alu 0xfffe
	s_mul_hi_u32 s31, s24, s29
	s_mul_i32 s30, s24, s29
	s_mul_hi_u32 s2, s24, s28
	s_mul_i32 s33, s25, s28
	s_wait_alu 0xfffe
	s_add_nc_u64 s[30:31], s[2:3], s[30:31]
	s_mul_hi_u32 s23, s25, s28
	s_mul_hi_u32 s34, s25, s29
	s_add_co_u32 s2, s30, s33
	s_wait_alu 0xfffe
	s_add_co_ci_u32 s2, s31, s23
	s_mul_i32 s28, s25, s29
	s_add_co_ci_u32 s29, s34, 0
	s_wait_alu 0xfffe
	s_add_nc_u64 s[28:29], s[2:3], s[28:29]
	s_wait_alu 0xfffe
	v_add_co_u32 v4, s2, s24, s28
	s_delay_alu instid0(VALU_DEP_1) | instskip(SKIP_1) | instid1(VALU_DEP_1)
	s_cmp_lg_u32 s2, 0
	s_add_co_ci_u32 s25, s25, s29
	v_readfirstlane_b32 s24, v4
	s_wait_alu 0xfffe
	s_delay_alu instid0(VALU_DEP_1)
	s_mul_u64 s[26:27], s[26:27], s[24:25]
	s_wait_alu 0xfffe
	s_mul_hi_u32 s29, s24, s27
	s_mul_i32 s28, s24, s27
	s_mul_hi_u32 s2, s24, s26
	s_mul_i32 s30, s25, s26
	s_wait_alu 0xfffe
	s_add_nc_u64 s[28:29], s[2:3], s[28:29]
	s_mul_hi_u32 s23, s25, s26
	s_mul_hi_u32 s24, s25, s27
	s_wait_alu 0xfffe
	s_add_co_u32 s2, s28, s30
	s_add_co_ci_u32 s2, s29, s23
	s_mul_i32 s26, s25, s27
	s_add_co_ci_u32 s27, s24, 0
	s_wait_alu 0xfffe
	s_add_nc_u64 s[26:27], s[2:3], s[26:27]
	s_wait_alu 0xfffe
	v_add_co_u32 v4, s2, v4, s26
	s_delay_alu instid0(VALU_DEP_1) | instskip(SKIP_1) | instid1(VALU_DEP_1)
	s_cmp_lg_u32 s2, 0
	s_add_co_ci_u32 s2, s25, s27
	v_mul_hi_u32 v13, v5, v4
	s_wait_alu 0xfffe
	v_mad_co_u64_u32 v[7:8], null, v5, s2, 0
	v_mad_co_u64_u32 v[9:10], null, v6, v4, 0
	;; [unrolled: 1-line block ×3, first 2 shown]
	s_delay_alu instid0(VALU_DEP_3) | instskip(SKIP_1) | instid1(VALU_DEP_4)
	v_add_co_u32 v4, vcc_lo, v13, v7
	s_wait_alu 0xfffd
	v_add_co_ci_u32_e32 v7, vcc_lo, 0, v8, vcc_lo
	s_delay_alu instid0(VALU_DEP_2) | instskip(SKIP_1) | instid1(VALU_DEP_2)
	v_add_co_u32 v4, vcc_lo, v4, v9
	s_wait_alu 0xfffd
	v_add_co_ci_u32_e32 v4, vcc_lo, v7, v10, vcc_lo
	s_wait_alu 0xfffd
	v_add_co_ci_u32_e32 v7, vcc_lo, 0, v12, vcc_lo
	s_delay_alu instid0(VALU_DEP_2) | instskip(SKIP_1) | instid1(VALU_DEP_2)
	v_add_co_u32 v4, vcc_lo, v4, v11
	s_wait_alu 0xfffd
	v_add_co_ci_u32_e32 v9, vcc_lo, 0, v7, vcc_lo
	s_delay_alu instid0(VALU_DEP_2) | instskip(SKIP_1) | instid1(VALU_DEP_3)
	v_mul_lo_u32 v10, s21, v4
	v_mad_co_u64_u32 v[7:8], null, s20, v4, 0
	v_mul_lo_u32 v11, s20, v9
	s_delay_alu instid0(VALU_DEP_2) | instskip(NEXT) | instid1(VALU_DEP_2)
	v_sub_co_u32 v7, vcc_lo, v5, v7
	v_add3_u32 v8, v8, v11, v10
	s_delay_alu instid0(VALU_DEP_1) | instskip(SKIP_1) | instid1(VALU_DEP_1)
	v_sub_nc_u32_e32 v10, v6, v8
	s_wait_alu 0xfffd
	v_subrev_co_ci_u32_e64 v10, s2, s21, v10, vcc_lo
	v_add_co_u32 v11, s2, v4, 2
	s_wait_alu 0xf1ff
	v_add_co_ci_u32_e64 v12, s2, 0, v9, s2
	v_sub_co_u32 v13, s2, v7, s20
	v_sub_co_ci_u32_e32 v8, vcc_lo, v6, v8, vcc_lo
	s_wait_alu 0xf1ff
	v_subrev_co_ci_u32_e64 v10, s2, 0, v10, s2
	s_delay_alu instid0(VALU_DEP_3) | instskip(NEXT) | instid1(VALU_DEP_3)
	v_cmp_le_u32_e32 vcc_lo, s20, v13
	v_cmp_eq_u32_e64 s2, s21, v8
	s_wait_alu 0xfffd
	v_cndmask_b32_e64 v13, 0, -1, vcc_lo
	v_cmp_le_u32_e32 vcc_lo, s21, v10
	s_wait_alu 0xfffd
	v_cndmask_b32_e64 v14, 0, -1, vcc_lo
	v_cmp_le_u32_e32 vcc_lo, s20, v7
	;; [unrolled: 3-line block ×3, first 2 shown]
	s_wait_alu 0xfffd
	v_cndmask_b32_e64 v15, 0, -1, vcc_lo
	v_cmp_eq_u32_e32 vcc_lo, s21, v10
	s_wait_alu 0xf1ff
	s_delay_alu instid0(VALU_DEP_2)
	v_cndmask_b32_e64 v7, v15, v7, s2
	s_wait_alu 0xfffd
	v_cndmask_b32_e32 v10, v14, v13, vcc_lo
	v_add_co_u32 v13, vcc_lo, v4, 1
	s_wait_alu 0xfffd
	v_add_co_ci_u32_e32 v14, vcc_lo, 0, v9, vcc_lo
	s_delay_alu instid0(VALU_DEP_3) | instskip(SKIP_2) | instid1(VALU_DEP_3)
	v_cmp_ne_u32_e32 vcc_lo, 0, v10
	s_wait_alu 0xfffd
	v_cndmask_b32_e32 v10, v13, v11, vcc_lo
	v_cndmask_b32_e32 v8, v14, v12, vcc_lo
	v_cmp_ne_u32_e32 vcc_lo, 0, v7
	s_wait_alu 0xfffd
	s_delay_alu instid0(VALU_DEP_2)
	v_dual_cndmask_b32 v7, v4, v10 :: v_dual_cndmask_b32 v8, v9, v8
.LBB0_4:                                ;   in Loop: Header=BB0_2 Depth=1
	s_wait_alu 0xfffe
	s_and_not1_saveexec_b32 s2, s22
	s_cbranch_execz .LBB0_6
; %bb.5:                                ;   in Loop: Header=BB0_2 Depth=1
	v_cvt_f32_u32_e32 v4, s20
	s_sub_co_i32 s22, 0, s20
	s_delay_alu instid0(VALU_DEP_1) | instskip(NEXT) | instid1(TRANS32_DEP_1)
	v_rcp_iflag_f32_e32 v4, v4
	v_mul_f32_e32 v4, 0x4f7ffffe, v4
	s_delay_alu instid0(VALU_DEP_1) | instskip(SKIP_1) | instid1(VALU_DEP_1)
	v_cvt_u32_f32_e32 v4, v4
	s_wait_alu 0xfffe
	v_mul_lo_u32 v7, s22, v4
	s_delay_alu instid0(VALU_DEP_1) | instskip(NEXT) | instid1(VALU_DEP_1)
	v_mul_hi_u32 v7, v4, v7
	v_add_nc_u32_e32 v4, v4, v7
	s_delay_alu instid0(VALU_DEP_1) | instskip(NEXT) | instid1(VALU_DEP_1)
	v_mul_hi_u32 v4, v5, v4
	v_mul_lo_u32 v7, v4, s20
	v_add_nc_u32_e32 v8, 1, v4
	s_delay_alu instid0(VALU_DEP_2) | instskip(NEXT) | instid1(VALU_DEP_1)
	v_sub_nc_u32_e32 v7, v5, v7
	v_subrev_nc_u32_e32 v9, s20, v7
	v_cmp_le_u32_e32 vcc_lo, s20, v7
	s_wait_alu 0xfffd
	s_delay_alu instid0(VALU_DEP_2) | instskip(NEXT) | instid1(VALU_DEP_1)
	v_dual_cndmask_b32 v7, v7, v9 :: v_dual_cndmask_b32 v4, v4, v8
	v_cmp_le_u32_e32 vcc_lo, s20, v7
	s_delay_alu instid0(VALU_DEP_2) | instskip(SKIP_1) | instid1(VALU_DEP_1)
	v_add_nc_u32_e32 v8, 1, v4
	s_wait_alu 0xfffd
	v_dual_cndmask_b32 v7, v4, v8 :: v_dual_mov_b32 v8, v3
.LBB0_6:                                ;   in Loop: Header=BB0_2 Depth=1
	s_wait_alu 0xfffe
	s_or_b32 exec_lo, exec_lo, s2
	s_load_b64 s[22:23], s[14:15], 0x0
	s_delay_alu instid0(VALU_DEP_1)
	v_mul_lo_u32 v4, v8, s20
	v_mul_lo_u32 v11, v7, s21
	v_mad_co_u64_u32 v[9:10], null, v7, s20, 0
	s_add_nc_u64 s[16:17], s[16:17], 1
	s_add_nc_u64 s[14:15], s[14:15], 8
	s_wait_alu 0xfffe
	v_cmp_ge_u64_e64 s2, s[16:17], s[6:7]
	s_add_nc_u64 s[18:19], s[18:19], 8
	s_delay_alu instid0(VALU_DEP_2) | instskip(NEXT) | instid1(VALU_DEP_3)
	v_add3_u32 v4, v10, v11, v4
	v_sub_co_u32 v5, vcc_lo, v5, v9
	s_wait_alu 0xfffd
	s_delay_alu instid0(VALU_DEP_2) | instskip(SKIP_3) | instid1(VALU_DEP_2)
	v_sub_co_ci_u32_e32 v4, vcc_lo, v6, v4, vcc_lo
	s_and_b32 vcc_lo, exec_lo, s2
	s_wait_kmcnt 0x0
	v_mul_lo_u32 v6, s23, v5
	v_mul_lo_u32 v4, s22, v4
	v_mad_co_u64_u32 v[1:2], null, s22, v5, v[1:2]
	s_delay_alu instid0(VALU_DEP_1)
	v_add3_u32 v2, v6, v2, v4
	s_wait_alu 0xfffe
	s_cbranch_vccnz .LBB0_9
; %bb.7:                                ;   in Loop: Header=BB0_2 Depth=1
	v_dual_mov_b32 v5, v7 :: v_dual_mov_b32 v6, v8
	s_branch .LBB0_2
.LBB0_8:
	v_dual_mov_b32 v8, v6 :: v_dual_mov_b32 v7, v5
.LBB0_9:
	s_lshl_b64 s[2:3], s[6:7], 3
	v_mul_hi_u32 v3, 0x4ec4ec5, v0
	s_wait_alu 0xfffe
	s_add_nc_u64 s[2:3], s[12:13], s[2:3]
	s_load_b64 s[0:1], s[0:1], 0x20
	s_load_b64 s[2:3], s[2:3], 0x0
                                        ; implicit-def: $vgpr23
                                        ; implicit-def: $vgpr21
                                        ; implicit-def: $vgpr19
                                        ; implicit-def: $vgpr17
                                        ; implicit-def: $vgpr15
                                        ; implicit-def: $vgpr6
                                        ; implicit-def: $vgpr10
                                        ; implicit-def: $vgpr12
                                        ; implicit-def: $vgpr14
	s_delay_alu instid0(VALU_DEP_1) | instskip(NEXT) | instid1(VALU_DEP_1)
	v_mul_u32_u24_e32 v3, 52, v3
	v_sub_nc_u32_e32 v0, v0, v3
	s_delay_alu instid0(VALU_DEP_1)
	v_add_nc_u32_e32 v91, 52, v0
	v_add_nc_u32_e32 v90, 0x68, v0
	;; [unrolled: 1-line block ×4, first 2 shown]
	s_wait_kmcnt 0x0
	v_cmp_gt_u64_e32 vcc_lo, s[0:1], v[7:8]
	v_mul_lo_u32 v3, s2, v8
	v_mul_lo_u32 v4, s3, v7
	v_mad_co_u64_u32 v[1:2], null, s2, v7, v[1:2]
	v_cmp_le_u64_e64 s0, s[0:1], v[7:8]
	v_add_nc_u32_e32 v85, 0x104, v0
	v_add_nc_u32_e32 v89, 0x138, v0
	;; [unrolled: 1-line block ×6, first 2 shown]
	v_add3_u32 v2, v4, v2, v3
	v_add_nc_u32_e32 v80, 0x23c, v0
                                        ; implicit-def: $sgpr2_sgpr3
                                        ; implicit-def: $vgpr4
                                        ; implicit-def: $vgpr8
	s_and_saveexec_b32 s1, s0
	s_wait_alu 0xfffe
	s_xor_b32 s0, exec_lo, s1
	s_cbranch_execz .LBB0_11
; %bb.10:
	v_add_nc_u32_e32 v23, 52, v0
	v_add_nc_u32_e32 v21, 0x68, v0
	;; [unrolled: 1-line block ×11, first 2 shown]
	s_mov_b64 s[2:3], 0
.LBB0_11:
	s_wait_alu 0xfffe
	s_or_saveexec_b32 s1, s0
	v_dual_mov_b32 v37, s3 :: v_dual_add_nc_u32 v92, 0x3dc, v0
	v_dual_mov_b32 v39, s3 :: v_dual_add_nc_u32 v84, 0x410, v0
	v_dual_mov_b32 v36, s2 :: v_dual_mov_b32 v49, s3
	v_dual_mov_b32 v38, s2 :: v_dual_mov_b32 v47, s3
	;; [unrolled: 1-line block ×4, first 2 shown]
	v_lshlrev_b64_e32 v[2:3], 3, v[1:2]
	v_dual_mov_b32 v25, s3 :: v_dual_add_nc_u32 v98, 0x2a4, v0
	v_dual_mov_b32 v31, s3 :: v_dual_add_nc_u32 v96, 0x30c, v0
	;; [unrolled: 1-line block ×3, first 2 shown]
	v_dual_mov_b32 v64, s2 :: v_dual_mov_b32 v69, s3
	v_dual_mov_b32 v66, s2 :: v_dual_mov_b32 v71, s3
	;; [unrolled: 1-line block ×3, first 2 shown]
	v_dual_mov_b32 v24, s2 :: v_dual_add_nc_u32 v99, 0x270, v0
	v_dual_mov_b32 v30, s2 :: v_dual_add_nc_u32 v97, 0x2d8, v0
	v_or_b32_e32 v95, 0x340, v0
	v_dual_mov_b32 v28, s2 :: v_dual_add_nc_u32 v93, 0x3a8, v0
	v_mov_b32_e32 v68, s2
	v_mov_b32_e32 v70, s2
                                        ; implicit-def: $vgpr53
                                        ; implicit-def: $vgpr27
                                        ; implicit-def: $vgpr33
                                        ; implicit-def: $vgpr63
                                        ; implicit-def: $vgpr51
                                        ; implicit-def: $vgpr73
                                        ; implicit-def: $vgpr75
                                        ; implicit-def: $vgpr79
                                        ; implicit-def: $vgpr77
                                        ; implicit-def: $vgpr41
                                        ; implicit-def: $vgpr43
                                        ; implicit-def: $vgpr35
	s_wait_alu 0xfffe
	s_xor_b32 exec_lo, exec_lo, s1
	s_cbranch_execz .LBB0_13
; %bb.12:
	v_mad_co_u64_u32 v[4:5], null, s8, v0, 0
	v_mad_co_u64_u32 v[6:7], null, s8, v99, 0
	v_mad_co_u64_u32 v[8:9], null, s8, v91, 0
	v_mad_co_u64_u32 v[19:20], null, s8, v96, 0
	s_delay_alu instid0(VALU_DEP_4) | instskip(SKIP_3) | instid1(VALU_DEP_4)
	v_mov_b32_e32 v1, v5
	v_mad_co_u64_u32 v[10:11], null, s8, v98, 0
	v_mov_b32_e32 v5, v7
	v_add_co_u32 v54, s0, s10, v2
	v_mad_co_u64_u32 v[12:13], null, s9, v0, v[1:2]
	s_delay_alu instid0(VALU_DEP_3)
	v_mad_co_u64_u32 v[13:14], null, s9, v99, v[5:6]
	v_mov_b32_e32 v1, v9
	v_mov_b32_e32 v9, v11
	s_wait_alu 0xf1ff
	v_add_co_ci_u32_e64 v55, s0, s11, v3, s0
	v_mov_b32_e32 v5, v12
	v_mad_co_u64_u32 v[11:12], null, s9, v91, v[1:2]
	v_mov_b32_e32 v7, v13
	v_mad_co_u64_u32 v[12:13], null, s9, v98, v[9:10]
	v_mad_co_u64_u32 v[13:14], null, s8, v90, 0
	v_lshlrev_b64_e32 v[4:5], 3, v[4:5]
	v_mov_b32_e32 v9, v11
	v_lshlrev_b64_e32 v[6:7], 3, v[6:7]
	v_mad_co_u64_u32 v[17:18], null, s8, v88, 0
	v_mov_b32_e32 v11, v12
	v_mov_b32_e32 v1, v14
	v_add_co_u32 v4, s0, v54, v4
	v_lshlrev_b64_e32 v[8:9], 3, v[8:9]
	s_wait_alu 0xf1ff
	v_add_co_ci_u32_e64 v5, s0, v55, v5, s0
	v_mad_co_u64_u32 v[14:15], null, s9, v90, v[1:2]
	v_mad_co_u64_u32 v[15:16], null, s8, v97, 0
	v_add_co_u32 v6, s0, v54, v6
	v_lshlrev_b64_e32 v[10:11], 3, v[10:11]
	s_wait_alu 0xf1ff
	v_add_co_ci_u32_e64 v7, s0, v55, v7, s0
	v_add_co_u32 v8, s0, v54, v8
	v_mov_b32_e32 v1, v16
	s_wait_alu 0xf1ff
	v_add_co_ci_u32_e64 v9, s0, v55, v9, s0
	v_add_co_u32 v10, s0, v54, v10
	s_delay_alu instid0(VALU_DEP_3)
	v_mad_co_u64_u32 v[21:22], null, s9, v97, v[1:2]
	v_mov_b32_e32 v1, v18
	s_wait_alu 0xf1ff
	v_add_co_ci_u32_e64 v11, s0, v55, v11, s0
	s_clause 0x3
	global_load_b64 v[44:45], v[4:5], off
	global_load_b64 v[52:53], v[6:7], off
	;; [unrolled: 1-line block ×4, first 2 shown]
	v_mov_b32_e32 v6, v20
	v_mad_co_u64_u32 v[7:8], null, s9, v88, v[1:2]
	v_mov_b32_e32 v16, v21
	v_lshlrev_b64_e32 v[4:5], 3, v[13:14]
	v_add_nc_u32_e32 v23, 0x4ac, v0
	s_delay_alu instid0(VALU_DEP_3)
	v_lshlrev_b64_e32 v[11:12], 3, v[15:16]
	v_mad_co_u64_u32 v[8:9], null, s9, v96, v[6:7]
	v_mad_co_u64_u32 v[9:10], null, s8, v86, 0
	v_mov_b32_e32 v18, v7
	v_add_co_u32 v4, s0, v54, v4
	s_wait_alu 0xf1ff
	v_add_co_ci_u32_e64 v5, s0, v55, v5, s0
	s_delay_alu instid0(VALU_DEP_4)
	v_dual_mov_b32 v20, v8 :: v_dual_mov_b32 v1, v10
	v_add_co_u32 v6, s0, v54, v11
	v_lshlrev_b64_e32 v[10:11], 3, v[17:18]
	s_wait_alu 0xf1ff
	v_add_co_ci_u32_e64 v7, s0, v55, v12, s0
	v_lshlrev_b64_e32 v[12:13], 3, v[19:20]
	v_mad_co_u64_u32 v[14:15], null, s9, v86, v[1:2]
	v_mad_co_u64_u32 v[15:16], null, s8, v95, 0
	v_add_co_u32 v17, s0, v54, v10
	s_wait_alu 0xf1ff
	v_add_co_ci_u32_e64 v18, s0, v55, v11, s0
	v_add_co_u32 v11, s0, v54, v12
	s_wait_alu 0xf1ff
	v_add_co_ci_u32_e64 v12, s0, v55, v13, s0
	v_mov_b32_e32 v10, v14
	v_mad_co_u64_u32 v[13:14], null, s8, v85, 0
	v_mov_b32_e32 v1, v16
	v_mad_co_u64_u32 v[19:20], null, s8, v94, 0
	s_clause 0x3
	global_load_b64 v[30:31], v[4:5], off
	global_load_b64 v[32:33], v[6:7], off
	global_load_b64 v[28:29], v[17:18], off
	global_load_b64 v[34:35], v[11:12], off
	v_lshlrev_b64_e32 v[4:5], 3, v[9:10]
	v_mad_co_u64_u32 v[21:22], null, s9, v95, v[1:2]
	v_dual_mov_b32 v1, v14 :: v_dual_mov_b32 v6, v20
	s_delay_alu instid0(VALU_DEP_3) | instskip(NEXT) | instid1(VALU_DEP_2)
	v_add_co_u32 v4, s0, v54, v4
	v_mad_co_u64_u32 v[7:8], null, s9, v85, v[1:2]
	s_delay_alu instid0(VALU_DEP_4) | instskip(SKIP_2) | instid1(VALU_DEP_2)
	v_mov_b32_e32 v16, v21
	s_wait_alu 0xf1ff
	v_add_co_ci_u32_e64 v5, s0, v55, v5, s0
	v_lshlrev_b64_e32 v[11:12], 3, v[15:16]
	s_delay_alu instid0(VALU_DEP_4) | instskip(SKIP_2) | instid1(VALU_DEP_4)
	v_mad_co_u64_u32 v[8:9], null, s9, v94, v[6:7]
	v_mad_co_u64_u32 v[9:10], null, s8, v89, 0
	v_mov_b32_e32 v14, v7
	v_add_co_u32 v6, s0, v54, v11
	s_wait_alu 0xf1ff
	v_add_co_ci_u32_e64 v7, s0, v55, v12, s0
	s_delay_alu instid0(VALU_DEP_4) | instskip(SKIP_1) | instid1(VALU_DEP_2)
	v_dual_mov_b32 v20, v8 :: v_dual_mov_b32 v1, v10
	v_lshlrev_b64_e32 v[10:11], 3, v[13:14]
	v_lshlrev_b64_e32 v[12:13], 3, v[19:20]
	s_delay_alu instid0(VALU_DEP_3) | instskip(SKIP_1) | instid1(VALU_DEP_4)
	v_mad_co_u64_u32 v[14:15], null, s9, v89, v[1:2]
	v_mad_co_u64_u32 v[15:16], null, s8, v93, 0
	v_add_co_u32 v17, s0, v54, v10
	s_wait_alu 0xf1ff
	v_add_co_ci_u32_e64 v18, s0, v55, v11, s0
	v_add_co_u32 v11, s0, v54, v12
	s_wait_alu 0xf1ff
	v_add_co_ci_u32_e64 v12, s0, v55, v13, s0
	v_mov_b32_e32 v10, v14
	v_mad_co_u64_u32 v[13:14], null, s8, v87, 0
	v_mov_b32_e32 v1, v16
	v_mad_co_u64_u32 v[19:20], null, s8, v92, 0
	s_clause 0x3
	global_load_b64 v[36:37], v[4:5], off
	global_load_b64 v[42:43], v[6:7], off
	;; [unrolled: 1-line block ×4, first 2 shown]
	v_lshlrev_b64_e32 v[4:5], 3, v[9:10]
	v_mad_co_u64_u32 v[21:22], null, s9, v93, v[1:2]
	v_dual_mov_b32 v1, v14 :: v_dual_mov_b32 v6, v20
	s_delay_alu instid0(VALU_DEP_3) | instskip(NEXT) | instid1(VALU_DEP_2)
	v_add_co_u32 v4, s0, v54, v4
	v_mad_co_u64_u32 v[7:8], null, s9, v87, v[1:2]
	s_delay_alu instid0(VALU_DEP_4) | instskip(SKIP_2) | instid1(VALU_DEP_2)
	v_mov_b32_e32 v16, v21
	s_wait_alu 0xf1ff
	v_add_co_ci_u32_e64 v5, s0, v55, v5, s0
	v_lshlrev_b64_e32 v[11:12], 3, v[15:16]
	s_delay_alu instid0(VALU_DEP_4) | instskip(SKIP_2) | instid1(VALU_DEP_4)
	v_mad_co_u64_u32 v[8:9], null, s9, v92, v[6:7]
	v_mad_co_u64_u32 v[9:10], null, s8, v83, 0
	v_mov_b32_e32 v14, v7
	v_add_co_u32 v6, s0, v54, v11
	s_wait_alu 0xf1ff
	v_add_co_ci_u32_e64 v7, s0, v55, v12, s0
	s_delay_alu instid0(VALU_DEP_4) | instskip(SKIP_1) | instid1(VALU_DEP_2)
	v_dual_mov_b32 v20, v8 :: v_dual_mov_b32 v1, v10
	v_lshlrev_b64_e32 v[10:11], 3, v[13:14]
	v_lshlrev_b64_e32 v[12:13], 3, v[19:20]
	s_delay_alu instid0(VALU_DEP_3) | instskip(SKIP_1) | instid1(VALU_DEP_4)
	v_mad_co_u64_u32 v[14:15], null, s9, v83, v[1:2]
	v_mad_co_u64_u32 v[15:16], null, s8, v84, 0
	v_add_co_u32 v17, s0, v54, v10
	s_wait_alu 0xf1ff
	v_add_co_ci_u32_e64 v18, s0, v55, v11, s0
	v_add_co_u32 v11, s0, v54, v12
	s_wait_alu 0xf1ff
	v_add_co_ci_u32_e64 v12, s0, v55, v13, s0
	v_mov_b32_e32 v10, v14
	v_mad_co_u64_u32 v[13:14], null, s8, v82, 0
	v_mov_b32_e32 v1, v16
	s_clause 0x3
	global_load_b64 v[48:49], v[4:5], off
	global_load_b64 v[62:63], v[6:7], off
	;; [unrolled: 1-line block ×4, first 2 shown]
	v_add_nc_u32_e32 v17, 0x444, v0
	v_lshlrev_b64_e32 v[4:5], 3, v[9:10]
	v_mad_co_u64_u32 v[19:20], null, s9, v84, v[1:2]
	v_mov_b32_e32 v1, v14
	s_delay_alu instid0(VALU_DEP_4) | instskip(SKIP_2) | instid1(VALU_DEP_4)
	v_mad_co_u64_u32 v[6:7], null, s8, v17, 0
	v_add_nc_u32_e32 v20, 0x478, v0
	v_add_co_u32 v4, s0, v54, v4
	v_mad_co_u64_u32 v[8:9], null, s9, v82, v[1:2]
	v_mov_b32_e32 v16, v19
	v_mad_co_u64_u32 v[9:10], null, s8, v81, 0
	v_mov_b32_e32 v1, v7
	s_wait_alu 0xf1ff
	v_add_co_ci_u32_e64 v5, s0, v55, v5, s0
	v_lshlrev_b64_e32 v[11:12], 3, v[15:16]
	v_mad_co_u64_u32 v[15:16], null, s8, v20, 0
	v_mov_b32_e32 v14, v8
	v_mad_co_u64_u32 v[7:8], null, s9, v17, v[1:2]
	v_mov_b32_e32 v1, v10
	v_add_co_u32 v11, s0, v54, v11
	s_delay_alu instid0(VALU_DEP_4)
	v_lshlrev_b64_e32 v[13:14], 3, v[13:14]
	s_wait_alu 0xf1ff
	v_add_co_ci_u32_e64 v12, s0, v55, v12, s0
	v_mad_co_u64_u32 v[17:18], null, s9, v81, v[1:2]
	v_mov_b32_e32 v1, v16
	v_mad_co_u64_u32 v[18:19], null, s8, v80, 0
	v_lshlrev_b64_e32 v[6:7], 3, v[6:7]
	v_add_co_u32 v13, s0, v54, v13
	s_delay_alu instid0(VALU_DEP_4) | instskip(SKIP_4) | instid1(VALU_DEP_4)
	v_mad_co_u64_u32 v[20:21], null, s9, v20, v[1:2]
	v_mad_co_u64_u32 v[21:22], null, s8, v23, 0
	v_dual_mov_b32 v1, v19 :: v_dual_mov_b32 v10, v17
	s_wait_alu 0xf1ff
	v_add_co_ci_u32_e64 v14, s0, v55, v14, s0
	v_mov_b32_e32 v16, v20
	s_delay_alu instid0(VALU_DEP_3) | instskip(SKIP_4) | instid1(VALU_DEP_4)
	v_mad_co_u64_u32 v[19:20], null, s9, v80, v[1:2]
	v_mov_b32_e32 v1, v22
	v_lshlrev_b64_e32 v[8:9], 3, v[9:10]
	v_add_co_u32 v6, s0, v54, v6
	v_lshlrev_b64_e32 v[15:16], 3, v[15:16]
	v_mad_co_u64_u32 v[22:23], null, s9, v23, v[1:2]
	s_wait_alu 0xf1ff
	v_add_co_ci_u32_e64 v7, s0, v55, v7, s0
	v_add_co_u32 v8, s0, v54, v8
	v_lshlrev_b64_e32 v[17:18], 3, v[18:19]
	s_wait_alu 0xf1ff
	v_add_co_ci_u32_e64 v9, s0, v55, v9, s0
	v_add_co_u32 v15, s0, v54, v15
	v_lshlrev_b64_e32 v[19:20], 3, v[21:22]
	s_wait_alu 0xf1ff
	v_add_co_ci_u32_e64 v16, s0, v55, v16, s0
	v_add_co_u32 v17, s0, v54, v17
	s_wait_alu 0xf1ff
	v_add_co_ci_u32_e64 v18, s0, v55, v18, s0
	v_add_co_u32 v19, s0, v54, v19
	s_wait_alu 0xf1ff
	v_add_co_ci_u32_e64 v20, s0, v55, v20, s0
	s_clause 0x7
	global_load_b64 v[64:65], v[4:5], off
	global_load_b64 v[72:73], v[11:12], off
	;; [unrolled: 1-line block ×8, first 2 shown]
	v_mov_b32_e32 v4, v89
	v_mov_b32_e32 v14, v80
	;; [unrolled: 1-line block ×5, first 2 shown]
	v_dual_mov_b32 v6, v87 :: v_dual_mov_b32 v15, v85
	v_mov_b32_e32 v17, v86
	v_mov_b32_e32 v19, v88
	;; [unrolled: 1-line block ×4, first 2 shown]
.LBB0_13:
	s_or_b32 exec_lo, exec_lo, s1
	s_wait_loadcnt 0x8
	v_dual_sub_f32 v54, v44, v52 :: v_dual_sub_f32 v103, v46, v50
	v_sub_f32_e32 v116, v45, v53
	v_dual_sub_f32 v56, v24, v26 :: v_dual_sub_f32 v101, v38, v40
	v_sub_f32_e32 v58, v30, v32
	v_dual_sub_f32 v60, v28, v34 :: v_dual_lshlrev_b32 v111, 2, v17
	v_fma_f32 v53, v44, 2.0, -v54
	v_fma_f32 v115, v45, 2.0, -v116
	v_sub_f32_e32 v45, v36, v42
	v_fma_f32 v55, v24, 2.0, -v56
	v_fma_f32 v57, v30, 2.0, -v58
	v_lshl_add_u32 v24, v0, 3, 0
	v_lshl_add_u32 v30, v23, 3, 0
	v_sub_f32_e32 v62, v48, v62
	s_wait_loadcnt 0x6
	v_sub_f32_e32 v105, v64, v72
	v_fma_f32 v59, v28, 2.0, -v60
	v_fma_f32 v44, v36, 2.0, -v45
	;; [unrolled: 1-line block ×3, first 2 shown]
	s_wait_loadcnt 0x4
	v_sub_f32_e32 v46, v66, v74
	ds_store_b64 v24, v[53:54]
	v_lshl_add_u32 v34, v21, 3, 0
	v_lshl_add_u32 v1, v19, 3, 0
	ds_store_b64 v30, v[55:56]
	v_lshl_add_u32 v5, v17, 3, 0
	s_wait_loadcnt 0x0
	v_dual_sub_f32 v55, v70, v78 :: v_dual_lshlrev_b32 v110, 2, v19
	v_lshl_add_u32 v78, v0, 2, 0
	v_sub_f32_e32 v53, v68, v76
	v_fma_f32 v100, v38, 2.0, -v101
	v_lshl_add_u32 v7, v15, 3, 0
	v_lshl_add_u32 v18, v6, 3, 0
	v_add_nc_u32_e32 v22, 0x800, v78
	v_fma_f32 v61, v48, 2.0, -v62
	v_fma_f32 v104, v64, 2.0, -v105
	v_lshl_add_u32 v11, v4, 3, 0
	v_lshl_add_u32 v9, v8, 3, 0
	;; [unrolled: 1-line block ×3, first 2 shown]
	v_add_nc_u32_e32 v113, 0xa00, v78
	ds_store_b64 v34, v[57:58]
	ds_store_b64 v1, v[59:60]
	;; [unrolled: 1-line block ×3, first 2 shown]
	v_fma_f32 v45, v66, 2.0, -v46
	v_fma_f32 v52, v68, 2.0, -v53
	v_lshl_add_u32 v16, v12, 3, 0
	v_fma_f32 v54, v70, 2.0, -v55
	v_lshl_add_u32 v20, v14, 3, 0
	v_lshlrev_b32_e32 v106, 2, v8
	ds_store_b64 v7, v[100:101]
	ds_store_b64 v11, v[61:62]
	;; [unrolled: 1-line block ×7, first 2 shown]
	v_dual_sub_f32 v26, v25, v27 :: v_dual_lshlrev_b32 v105, 2, v6
	v_dual_sub_f32 v32, v31, v33 :: v_dual_lshlrev_b32 v107, 2, v10
	v_lshlrev_b32_e32 v108, 2, v12
	v_lshlrev_b32_e32 v109, 2, v14
	v_dual_sub_f32 v33, v39, v41 :: v_dual_lshlrev_b32 v102, 2, v15
	v_lshlrev_b32_e32 v104, 2, v4
	v_sub_nc_u32_e32 v68, v9, v106
	v_add_nc_u32_e32 v114, 0x1000, v78
	v_lshl_add_u32 v100, v23, 2, 0
	v_sub_nc_u32_e32 v70, v13, v107
	v_fma_f32 v25, v25, 2.0, -v26
	v_lshl_add_u32 v101, v21, 2, 0
	v_sub_f32_e32 v41, v67, v75
	v_sub_nc_u32_e32 v72, v16, v108
	v_sub_nc_u32_e32 v46, v1, v110
	;; [unrolled: 1-line block ×4, first 2 shown]
	global_wb scope:SCOPE_SE
	s_wait_dscnt 0x0
	s_barrier_signal -1
	s_barrier_wait -1
	global_inv scope:SCOPE_SE
	v_add_nc_u32_e32 v112, 0xc00, v78
	v_sub_nc_u32_e32 v50, v7, v102
	v_sub_nc_u32_e32 v52, v11, v104
	;; [unrolled: 1-line block ×3, first 2 shown]
	ds_load_b32 v132, v78
	ds_load_b32 v140, v100
	;; [unrolled: 1-line block ×12, first 2 shown]
	ds_load_2addr_b32 v[61:62], v22 offset0:112 offset1:164
	ds_load_2addr_b32 v[59:60], v113 offset0:88 offset1:140
	;; [unrolled: 1-line block ×6, first 2 shown]
	global_wb scope:SCOPE_SE
	s_wait_dscnt 0x0
	s_barrier_signal -1
	s_barrier_wait -1
	global_inv scope:SCOPE_SE
	ds_store_b64 v24, v[115:116]
	ds_store_b64 v30, v[25:26]
	v_sub_f32_e32 v25, v29, v35
	v_sub_f32_e32 v30, v37, v43
	v_fma_f32 v31, v31, 2.0, -v32
	v_sub_f32_e32 v35, v49, v63
	v_sub_f32_e32 v43, v69, v77
	v_fma_f32 v24, v29, 2.0, -v25
	v_fma_f32 v29, v37, 2.0, -v30
	v_sub_f32_e32 v37, v47, v51
	ds_store_b64 v34, v[31:32]
	v_fma_f32 v32, v39, 2.0, -v33
	v_fma_f32 v34, v49, 2.0, -v35
	v_sub_f32_e32 v39, v65, v73
	v_fma_f32 v36, v47, 2.0, -v37
	ds_store_b64 v1, v[24:25]
	ds_store_b64 v5, v[29:30]
	;; [unrolled: 1-line block ×5, first 2 shown]
	v_and_b32_e32 v25, 1, v0
	v_sub_f32_e32 v45, v71, v79
	v_fma_f32 v38, v65, 2.0, -v39
	v_fma_f32 v40, v67, 2.0, -v41
	;; [unrolled: 1-line block ×3, first 2 shown]
	v_lshlrev_b32_e32 v24, 3, v25
	v_fma_f32 v44, v71, 2.0, -v45
	ds_store_b64 v9, v[38:39]
	ds_store_b64 v13, v[40:41]
	ds_store_b64 v16, v[42:43]
	ds_store_b64 v20, v[44:45]
	global_wb scope:SCOPE_SE
	s_wait_dscnt 0x0
	s_barrier_signal -1
	s_barrier_wait -1
	global_inv scope:SCOPE_SE
	global_load_b64 v[63:64], v24, s[4:5]
	ds_load_2addr_b32 v[73:74], v22 offset0:112 offset1:164
	ds_load_b32 v122, v48
	ds_load_b32 v123, v50
	ds_load_b32 v124, v52
	ds_load_b32 v117, v66
	ds_load_b32 v118, v68
	ds_load_b32 v119, v70
	ds_load_b32 v120, v72
	ds_load_b32 v121, v76
	v_lshlrev_b32_e32 v30, 1, v19
	v_lshlrev_b32_e32 v29, 1, v21
	;; [unrolled: 1-line block ×5, first 2 shown]
	v_and_or_b32 v30, 0x1fc, v30, v25
	v_lshlrev_b32_e32 v33, 1, v4
	v_lshlrev_b32_e32 v34, 1, v6
	;; [unrolled: 1-line block ×4, first 2 shown]
	v_lshl_add_u32 v127, v30, 2, 0
	v_lshlrev_b32_e32 v37, 1, v12
	v_lshlrev_b32_e32 v38, 1, v14
	v_cmp_gt_u32_e64 s0, 44, v0
	s_wait_loadcnt_dscnt 0x8
	v_mul_f32_e32 v30, v74, v64
	s_delay_alu instid0(VALU_DEP_1) | instskip(NEXT) | instid1(VALU_DEP_1)
	v_fma_f32 v30, v62, v63, -v30
	v_sub_f32_e32 v30, v140, v30
	v_and_or_b32 v29, 0x1fc, v29, v25
	v_and_or_b32 v31, 0x3fc, v31, v25
	;; [unrolled: 1-line block ×5, first 2 shown]
	v_lshl_add_u32 v126, v29, 2, 0
	v_mul_f32_e32 v29, v73, v64
	v_and_or_b32 v40, 0xfc, v26, v25
	v_and_or_b32 v35, 0x3fc, v35, v25
	;; [unrolled: 1-line block ×4, first 2 shown]
	v_fma_f32 v29, v61, v63, -v29
	v_lshlrev_b32_e32 v24, 1, v0
	v_and_or_b32 v38, 0x4fc, v38, v25
	v_lshl_add_u32 v131, v34, 2, 0
	v_lshl_add_u32 v128, v31, 2, 0
	v_sub_f32_e32 v29, v132, v29
	v_and_or_b32 v39, 0x7c, v24, v25
	ds_load_b32 v25, v78
	ds_load_b32 v139, v100
	;; [unrolled: 1-line block ×4, first 2 shown]
	ds_load_2addr_b32 v[75:76], v113 offset0:88 offset1:140
	ds_load_2addr_b32 v[71:72], v112 offset0:64 offset1:116
	;; [unrolled: 1-line block ×5, first 2 shown]
	v_add_nc_u32_e32 v79, 0x200, v78
	v_lshl_add_u32 v129, v32, 2, 0
	v_add_nc_u32_e32 v115, 0x400, v78
	v_lshl_add_u32 v125, v40, 2, 0
	v_lshl_add_u32 v130, v33, 2, 0
	;; [unrolled: 1-line block ×3, first 2 shown]
	v_add_nc_u32_e32 v77, 0xe00, v78
	v_lshl_add_u32 v116, v39, 2, 0
	v_lshl_add_u32 v133, v35, 2, 0
	;; [unrolled: 1-line block ×4, first 2 shown]
	v_fma_f32 v46, v140, 2.0, -v30
	global_wb scope:SCOPE_SE
	s_wait_dscnt 0x0
	s_barrier_signal -1
	s_barrier_wait -1
	v_mul_f32_e32 v31, v75, v64
	v_mul_f32_e32 v34, v72, v64
	;; [unrolled: 1-line block ×6, first 2 shown]
	v_fma_f32 v34, v58, v63, -v34
	v_mul_f32_e32 v40, v69, v64
	v_mul_f32_e32 v35, v70, v64
	;; [unrolled: 1-line block ×4, first 2 shown]
	v_sub_f32_e32 v45, v144, v34
	v_fma_f32 v31, v59, v63, -v31
	v_fma_f32 v32, v60, v63, -v32
	;; [unrolled: 1-line block ×9, first 2 shown]
	v_dual_sub_f32 v42, v141, v31 :: v_dual_sub_f32 v43, v142, v32
	v_sub_f32_e32 v44, v143, v33
	v_dual_sub_f32 v34, v147, v36 :: v_dual_sub_f32 v103, v145, v41
	v_sub_f32_e32 v32, v146, v35
	v_sub_f32_e32 v36, v148, v37
	;; [unrolled: 1-line block ×4, first 2 shown]
	v_fma_f32 v41, v132, 2.0, -v29
	v_fma_f32 v47, v141, 2.0, -v42
	;; [unrolled: 1-line block ×6, first 2 shown]
	global_inv scope:SCOPE_SE
	v_fma_f32 v31, v146, 2.0, -v32
	v_fma_f32 v33, v147, 2.0, -v34
	;; [unrolled: 1-line block ×5, first 2 shown]
	ds_store_2addr_b32 v116, v41, v29 offset1:2
	ds_store_2addr_b32 v125, v46, v30 offset1:2
	;; [unrolled: 1-line block ×12, first 2 shown]
	global_wb scope:SCOPE_SE
	s_wait_dscnt 0x0
	s_barrier_signal -1
	s_barrier_wait -1
	global_inv scope:SCOPE_SE
	ds_load_b32 v132, v78 offset:4608
	ds_load_2addr_b32 v[29:30], v78 offset1:96
	ds_load_2addr_b32 v[51:52], v79 offset0:64 offset1:160
	ds_load_2addr_b32 v[49:50], v115 offset0:128 offset1:224
	;; [unrolled: 1-line block ×3, first 2 shown]
	ds_load_2addr_b32 v[45:46], v112 offset1:96
	ds_load_2addr_b32 v[41:42], v77 offset0:64 offset1:160
                                        ; implicit-def: $vgpr44
	s_and_saveexec_b32 s1, s0
	s_cbranch_execz .LBB0_15
; %bb.14:
	ds_load_b32 v103, v100
	ds_load_2addr_b32 v[31:32], v78 offset0:148 offset1:244
	ds_load_2addr_b32 v[33:34], v115 offset0:84 offset1:180
	ds_load_2addr_b32 v[35:36], v22 offset0:20 offset1:116
	ds_load_2addr_b32 v[37:38], v113 offset0:84 offset1:180
	ds_load_2addr_b32 v[39:40], v112 offset0:148 offset1:244
	ds_load_2addr_b32 v[43:44], v114 offset0:84 offset1:180
.LBB0_15:
	s_wait_alu 0xfffe
	s_or_b32 exec_lo, exec_lo, s1
	v_mul_f32_e32 v62, v62, v64
	v_mul_f32_e32 v61, v61, v64
	;; [unrolled: 1-line block ×5, first 2 shown]
	v_dual_mul_f32 v57, v57, v64 :: v_dual_fmac_f32 v62, v74, v63
	v_dual_fmac_f32 v61, v73, v63 :: v_dual_mul_f32 v54, v54, v64
	v_mul_f32_e32 v53, v53, v64
	v_mul_f32_e32 v55, v55, v64
	;; [unrolled: 1-line block ×5, first 2 shown]
	v_fmac_f32_e32 v60, v76, v63
	v_fmac_f32_e32 v59, v75, v63
	;; [unrolled: 1-line block ×6, first 2 shown]
	v_dual_sub_f32 v64, v25, v61 :: v_dual_fmac_f32 v55, v67, v63
	v_dual_sub_f32 v67, v139, v62 :: v_dual_fmac_f32 v56, v68, v63
	v_sub_f32_e32 v68, v137, v60
	v_fmac_f32_e32 v27, v65, v63
	v_fmac_f32_e32 v28, v66, v63
	v_sub_f32_e32 v66, v138, v59
	v_dual_sub_f32 v69, v122, v57 :: v_dual_sub_f32 v70, v123, v58
	v_fma_f32 v63, v25, 2.0, -v64
	v_dual_sub_f32 v25, v124, v53 :: v_dual_sub_f32 v54, v117, v54
	v_sub_f32_e32 v62, v118, v55
	v_sub_f32_e32 v60, v119, v56
	;; [unrolled: 1-line block ×4, first 2 shown]
	v_fma_f32 v65, v139, 2.0, -v67
	v_fma_f32 v71, v138, 2.0, -v66
	;; [unrolled: 1-line block ×11, first 2 shown]
	global_wb scope:SCOPE_SE
	s_wait_dscnt 0x0
	s_barrier_signal -1
	s_barrier_wait -1
	global_inv scope:SCOPE_SE
	ds_store_2addr_b32 v116, v63, v64 offset1:2
	ds_store_2addr_b32 v125, v65, v67 offset1:2
	;; [unrolled: 1-line block ×12, first 2 shown]
	global_wb scope:SCOPE_SE
	s_wait_dscnt 0x0
	s_barrier_signal -1
	s_barrier_wait -1
	global_inv scope:SCOPE_SE
	ds_load_2addr_b32 v[27:28], v78 offset1:96
	ds_load_2addr_b32 v[73:74], v79 offset0:64 offset1:160
	ds_load_2addr_b32 v[69:70], v115 offset0:128 offset1:224
	;; [unrolled: 1-line block ×3, first 2 shown]
	ds_load_2addr_b32 v[65:66], v112 offset1:96
	ds_load_2addr_b32 v[63:64], v77 offset0:64 offset1:160
	ds_load_b32 v137, v78 offset:4608
                                        ; implicit-def: $vgpr72
	s_and_saveexec_b32 s1, s0
	s_cbranch_execz .LBB0_17
; %bb.16:
	v_add_nc_u32_e32 v22, 0x400, v78
	v_add_nc_u32_e32 v55, 0x800, v78
	;; [unrolled: 1-line block ×5, first 2 shown]
	ds_load_b32 v25, v100
	ds_load_2addr_b32 v[53:54], v78 offset0:148 offset1:244
	ds_load_2addr_b32 v[61:62], v22 offset0:84 offset1:180
	;; [unrolled: 1-line block ×6, first 2 shown]
.LBB0_17:
	s_wait_alu 0xfffe
	s_or_b32 exec_lo, exec_lo, s1
	v_and_b32_e32 v22, 3, v0
	v_sub_nc_u32_e32 v77, 0, v111
	v_sub_nc_u32_e32 v121, 0, v102
	;; [unrolled: 1-line block ×4, first 2 shown]
	v_mul_u32_u24_e32 v75, 12, v22
	v_sub_nc_u32_e32 v117, 0, v106
	v_sub_nc_u32_e32 v118, 0, v107
	;; [unrolled: 1-line block ×4, first 2 shown]
	v_lshlrev_b32_e32 v75, 3, v75
	v_sub_nc_u32_e32 v76, 0, v110
	s_clause 0x5
	global_load_b128 v[138:141], v75, s[4:5] offset:16
	global_load_b128 v[142:145], v75, s[4:5] offset:32
	;; [unrolled: 1-line block ×6, first 2 shown]
	v_lshrrev_b32_e32 v75, 2, v0
	global_wb scope:SCOPE_SE
	s_wait_loadcnt_dscnt 0x0
	s_barrier_signal -1
	s_barrier_wait -1
	global_inv scope:SCOPE_SE
	v_mul_u32_u24_e32 v79, 52, v75
	v_lshrrev_b32_e32 v75, 2, v23
	v_dual_mul_f32 v162, v73, v141 :: v_dual_mul_f32 v135, v28, v139
	s_delay_alu instid0(VALU_DEP_3) | instskip(SKIP_3) | instid1(VALU_DEP_4)
	v_or_b32_e32 v79, v79, v22
	v_dual_mul_f32 v134, v30, v139 :: v_dual_mul_f32 v133, v51, v141
	v_dual_mul_f32 v166, v67, v149 :: v_dual_mul_f32 v167, v68, v151
	;; [unrolled: 1-line block ×3, first 2 shown]
	v_lshl_add_u32 v113, v79, 2, 0
	v_dual_mul_f32 v163, v74, v143 :: v_dual_mul_f32 v164, v69, v145
	v_dual_mul_f32 v128, v52, v143 :: v_dual_mul_f32 v125, v45, v153
	;; [unrolled: 1-line block ×15, first 2 shown]
	v_dual_mul_f32 v149, v57, v151 :: v_dual_fmac_f32 v134, v28, v138
	v_dual_mul_f32 v151, v58, v153 :: v_dual_fmac_f32 v126, v69, v144
	v_dual_mul_f32 v105, v38, v153 :: v_dual_fmac_f32 v122, v67, v148
	v_dual_mul_f32 v153, v55, v155 :: v_dual_fmac_f32 v128, v74, v142
	v_dual_mul_f32 v107, v39, v155 :: v_dual_fmac_f32 v124, v70, v146
	v_dual_mul_f32 v155, v56, v157 :: v_dual_fmac_f32 v130, v137, v160
	v_dual_mul_f32 v109, v40, v157 :: v_dual_fmac_f32 v114, v53, v138
	v_dual_mul_f32 v157, v71, v159 :: v_dual_fmac_f32 v112, v54, v140
	v_dual_mul_f32 v111, v43, v159 :: v_dual_fmac_f32 v108, v61, v142
	v_dual_mul_f32 v159, v72, v161 :: v_dual_fmac_f32 v106, v62, v144
	v_fma_f32 v136, v30, v138, -v135
	v_dual_fmac_f32 v133, v73, v140 :: v_dual_fmac_f32 v104, v59, v146
	v_fma_f32 v30, v47, v148, -v166
	v_fma_f32 v47, v48, v150, -v167
	v_fmac_f32_e32 v131, v64, v158
	v_fma_f32 v135, v51, v140, -v162
	v_fma_f32 v51, v49, v144, -v164
	;; [unrolled: 1-line block ×4, first 2 shown]
	v_fmac_f32_e32 v123, v68, v150
	v_dual_fmac_f32 v127, v66, v154 :: v_dual_fmac_f32 v110, v72, v160
	v_dual_fmac_f32 v129, v63, v156 :: v_dual_fmac_f32 v102, v57, v150
	v_fma_f32 v48, v132, v160, -v172
	v_fma_f32 v64, v33, v142, -v141
	;; [unrolled: 1-line block ×4, first 2 shown]
	v_add_f32_e32 v44, v30, v47
	v_sub_f32_e32 v35, v133, v131
	v_sub_f32_e32 v33, v134, v130
	v_fma_f32 v52, v52, v142, -v163
	v_fma_f32 v46, v46, v154, -v169
	;; [unrolled: 1-line block ×3, first 2 shown]
	v_mul_f32_e32 v70, 0xbf6f5d39, v35
	v_fma_f32 v42, v42, v158, -v171
	v_fmac_f32_e32 v125, v65, v152
	v_fma_f32 v66, v31, v138, -v173
	v_fma_f32 v65, v32, v140, -v139
	v_fmac_f32_e32 v79, v60, v148
	v_fma_f32 v54, v37, v150, -v149
	v_fmac_f32_e32 v105, v58, v152
	v_fma_f32 v58, v39, v154, -v153
	v_dual_fmac_f32 v107, v55, v154 :: v_dual_add_f32 v32, v136, v48
	v_fma_f32 v55, v40, v156, -v155
	v_dual_fmac_f32 v111, v71, v158 :: v_dual_mul_f32 v60, 0xbf52af12, v33
	v_dual_add_f32 v31, v29, v136 :: v_dual_mul_f32 v62, 0xbf7e222b, v33
	v_dual_add_f32 v40, v49, v45 :: v_dual_fmac_f32 v109, v56, v156
	v_dual_sub_f32 v50, v122, v123 :: v_dual_mul_f32 v67, 0xbf6f5d39, v33
	v_mul_f32_e32 v68, 0xbf29c268, v33
	v_dual_sub_f32 v37, v128, v129 :: v_dual_mul_f32 v72, 0x3f29c268, v35
	v_sub_f32_e32 v39, v126, v127
	v_fma_f32 v63, v34, v144, -v143
	v_fma_f32 v28, v36, v148, -v147
	s_delay_alu instid0(VALU_DEP_4)
	v_mul_f32_e32 v74, 0xbf7e222b, v37
	v_fma_f32 v57, v38, v152, -v151
	v_fma_f32 v56, v43, v158, -v157
	v_add_f32_e32 v34, v135, v42
	v_add_f32_e32 v36, v52, v41
	v_dual_add_f32 v38, v51, v46 :: v_dual_sub_f32 v43, v124, v125
	v_mul_f32_e32 v140, 0xbf6f5d39, v39
	v_dual_add_f32 v31, v31, v135 :: v_dual_mul_f32 v132, 0xbe750f2a, v37
	v_mul_f32_e32 v53, 0xbeedf032, v33
	v_dual_mul_f32 v33, 0xbe750f2a, v33 :: v_dual_mul_f32 v150, 0xbe750f2a, v50
	v_mul_f32_e32 v73, 0x3f7e222b, v35
	v_mul_f32_e32 v138, 0x3eedf032, v37
	v_dual_mul_f32 v142, 0x3eedf032, v39 :: v_dual_mul_f32 v151, 0x3eedf032, v50
	v_mul_f32_e32 v152, 0xbf29c268, v50
	v_mul_f32_e32 v154, 0xbf6f5d39, v50
	v_fma_f32 v156, 0x3f116cb1, v32, -v60
	v_fmac_f32_e32 v60, 0x3f116cb1, v32
	v_mul_f32_e32 v69, 0xbf52af12, v35
	v_fma_f32 v157, 0x3df6dbef, v32, -v62
	v_mul_f32_e32 v71, 0xbe750f2a, v35
	v_mul_f32_e32 v35, 0x3eedf032, v35
	v_fmac_f32_e32 v62, 0x3df6dbef, v32
	v_mul_f32_e32 v137, 0x3f6f5d39, v37
	v_fma_f32 v158, 0xbeb58ec6, v32, -v67
	v_fmac_f32_e32 v67, 0xbeb58ec6, v32
	v_fma_f32 v159, 0xbf3f9e67, v32, -v68
	v_mul_f32_e32 v139, 0xbf52af12, v37
	v_mul_f32_e32 v37, 0xbf29c268, v37
	v_fmac_f32_e32 v68, 0xbf3f9e67, v32
	v_mul_f32_e32 v141, 0x3f29c268, v39
	v_dual_mul_f32 v144, 0x3e750f2a, v39 :: v_dual_add_f32 v31, v31, v52
	v_mul_f32_e32 v148, 0x3e750f2a, v43
	v_fma_f32 v155, 0x3f62ad3f, v32, -v53
	v_fmac_f32_e32 v53, 0x3f62ad3f, v32
	v_fma_f32 v160, 0xbf788fa5, v32, -v33
	v_fmac_f32_e32 v33, 0xbf788fa5, v32
	v_fma_f32 v161, 0xbeb58ec6, v34, -v70
	v_mul_f32_e32 v153, 0x3f52af12, v50
	v_mul_f32_e32 v50, 0x3f7e222b, v50
	v_fmac_f32_e32 v70, 0xbeb58ec6, v34
	v_fma_f32 v162, 0xbf788fa5, v34, -v71
	v_fmac_f32_e32 v71, 0xbf788fa5, v34
	v_fma_f32 v163, 0xbf3f9e67, v34, -v72
	;; [unrolled: 2-line block ×3, first 2 shown]
	v_mul_f32_e32 v147, 0xbf52af12, v43
	v_fmac_f32_e32 v73, 0x3df6dbef, v34
	v_fma_f32 v165, 0x3f62ad3f, v34, -v35
	v_fmac_f32_e32 v35, 0x3f62ad3f, v34
	v_fma_f32 v166, 0xbf788fa5, v36, -v132
	;; [unrolled: 2-line block ×3, first 2 shown]
	v_fmac_f32_e32 v142, 0x3f62ad3f, v38
	v_dual_mul_f32 v146, 0x3f7e222b, v43 :: v_dual_add_f32 v53, v29, v53
	v_fma_f32 v182, 0xbf3f9e67, v44, -v152
	v_dual_fmac_f32 v152, 0xbf3f9e67, v44 :: v_dual_add_f32 v67, v29, v67
	v_add_f32_e32 v60, v29, v60
	v_fma_f32 v32, 0x3f116cb1, v34, -v69
	v_mul_f32_e32 v143, 0xbf7e222b, v39
	v_mul_f32_e32 v39, 0x3f52af12, v39
	v_fmac_f32_e32 v69, 0x3f116cb1, v34
	v_fma_f32 v34, 0x3df6dbef, v36, -v74
	v_dual_add_f32 v62, v29, v62 :: v_dual_mul_f32 v145, 0xbf29c268, v43
	v_dual_add_f32 v68, v29, v68 :: v_dual_mul_f32 v149, 0x3eedf032, v43
	v_mul_f32_e32 v43, 0xbf6f5d39, v43
	v_fmac_f32_e32 v74, 0x3df6dbef, v36
	v_fma_f32 v167, 0xbeb58ec6, v36, -v137
	v_fmac_f32_e32 v137, 0xbeb58ec6, v36
	v_fma_f32 v168, 0x3f62ad3f, v36, -v138
	;; [unrolled: 2-line block ×10, first 2 shown]
	v_dual_fmac_f32 v146, 0x3df6dbef, v40 :: v_dual_add_f32 v31, v31, v51
	v_fma_f32 v177, 0x3f116cb1, v40, -v147
	v_fmac_f32_e32 v147, 0x3f116cb1, v40
	v_fma_f32 v178, 0xbf788fa5, v40, -v148
	v_fmac_f32_e32 v148, 0xbf788fa5, v40
	;; [unrolled: 2-line block ×5, first 2 shown]
	v_fma_f32 v184, 0xbeb58ec6, v44, -v154
	v_dual_fmac_f32 v154, 0xbeb58ec6, v44 :: v_dual_add_f32 v31, v31, v49
	v_fma_f32 v185, 0x3df6dbef, v44, -v50
	v_fmac_f32_e32 v50, 0x3df6dbef, v44
	v_add_f32_e32 v62, v71, v62
	v_fma_f32 v38, 0xbf3f9e67, v40, -v145
	v_add_f32_e32 v67, v72, v67
	v_fmac_f32_e32 v145, 0xbf3f9e67, v40
	v_add_f32_e32 v68, v73, v68
	v_fma_f32 v179, 0x3f62ad3f, v40, -v149
	v_fmac_f32_e32 v149, 0x3f62ad3f, v40
	v_fma_f32 v40, 0xbf788fa5, v44, -v150
	v_fmac_f32_e32 v150, 0xbf788fa5, v44
	v_add_f32_e32 v44, v29, v155
	v_add_f32_e32 v155, v29, v156
	;; [unrolled: 1-line block ×9, first 2 shown]
	v_dual_add_f32 v44, v161, v155 :: v_dual_add_f32 v53, v70, v60
	v_add_f32_e32 v60, v162, v156
	v_dual_add_f32 v32, v34, v32 :: v_dual_add_f32 v69, v163, v157
	s_delay_alu instid0(VALU_DEP_3) | instskip(SKIP_1) | instid1(VALU_DEP_4)
	v_add_f32_e32 v34, v166, v44
	v_add_f32_e32 v70, v164, v158
	;; [unrolled: 1-line block ×3, first 2 shown]
	s_delay_alu instid0(VALU_DEP_4) | instskip(SKIP_2) | instid1(VALU_DEP_4)
	v_add_f32_e32 v32, v36, v32
	v_add_f32_e32 v60, v168, v69
	;; [unrolled: 1-line block ×3, first 2 shown]
	v_dual_add_f32 v31, v31, v30 :: v_dual_add_f32 v36, v172, v44
	s_delay_alu instid0(VALU_DEP_4) | instskip(NEXT) | instid1(VALU_DEP_4)
	v_dual_add_f32 v35, v132, v53 :: v_dual_add_f32 v32, v38, v32
	v_add_f32_e32 v44, v173, v60
	v_dual_add_f32 v53, v137, v62 :: v_dual_add_f32 v62, v138, v67
	v_dual_add_f32 v67, v169, v70 :: v_dual_add_f32 v68, v139, v68
	s_delay_alu instid0(VALU_DEP_3) | instskip(SKIP_3) | instid1(VALU_DEP_4)
	v_add_f32_e32 v38, v178, v44
	v_dual_add_f32 v36, v177, v36 :: v_dual_add_f32 v31, v31, v47
	v_add_f32_e32 v33, v74, v33
	v_dual_add_f32 v29, v37, v29 :: v_dual_add_f32 v32, v40, v32
	v_dual_add_f32 v38, v183, v38 :: v_dual_add_f32 v71, v165, v159
	v_add_f32_e32 v37, v142, v53
	v_dual_add_f32 v53, v143, v62 :: v_dual_add_f32 v60, v174, v67
	s_delay_alu instid0(VALU_DEP_3) | instskip(SKIP_2) | instid1(VALU_DEP_4)
	v_dual_add_f32 v62, v144, v68 :: v_dual_add_f32 v69, v170, v71
	v_dual_add_f32 v36, v182, v36 :: v_dual_add_f32 v31, v31, v45
	v_add_f32_e32 v29, v39, v29
	v_dual_add_f32 v39, v148, v53 :: v_dual_add_f32 v44, v179, v60
	s_delay_alu instid0(VALU_DEP_4) | instskip(NEXT) | instid1(VALU_DEP_4)
	v_add_f32_e32 v53, v149, v62
	v_add_f32_e32 v31, v31, v46
	;; [unrolled: 1-line block ×4, first 2 shown]
	v_dual_add_f32 v35, v141, v35 :: v_dual_add_f32 v40, v184, v44
	v_add_f32_e32 v44, v154, v53
	v_add_f32_e32 v31, v31, v41
	;; [unrolled: 1-line block ×4, first 2 shown]
	v_dual_add_f32 v60, v180, v67 :: v_dual_add_f32 v29, v43, v29
	v_add_f32_e32 v35, v146, v35
	v_add_f32_e32 v37, v147, v37
	;; [unrolled: 1-line block ×12, first 2 shown]
	ds_store_2addr_b32 v113, v34, v36 offset0:8 offset1:12
	ds_store_2addr_b32 v113, v38, v40 offset0:16 offset1:20
	;; [unrolled: 1-line block ×5, first 2 shown]
	ds_store_2addr_b32 v113, v31, v32 offset1:4
	ds_store_b32 v113, v33 offset:192
	s_and_saveexec_b32 s1, s0
	s_cbranch_execz .LBB0_19
; %bb.18:
	v_dual_sub_f32 v29, v114, v110 :: v_dual_add_f32 v32, v65, v56
	v_dual_add_f32 v31, v66, v59 :: v_dual_sub_f32 v36, v108, v109
	s_delay_alu instid0(VALU_DEP_2) | instskip(SKIP_1) | instid1(VALU_DEP_3)
	v_dual_add_f32 v34, v64, v55 :: v_dual_mul_f32 v35, 0xbe750f2a, v29
	v_sub_f32_e32 v33, v112, v111
	v_dual_add_f32 v43, v61, v57 :: v_dual_mul_f32 v50, 0xbf29c268, v36
	v_dual_add_f32 v37, v63, v58 :: v_dual_sub_f32 v38, v106, v107
	s_delay_alu instid0(VALU_DEP_4) | instskip(NEXT) | instid1(VALU_DEP_4)
	v_fmamk_f32 v40, v31, 0xbf788fa5, v35
	v_mul_f32_e32 v39, 0x3eedf032, v33
	s_delay_alu instid0(VALU_DEP_4) | instskip(SKIP_1) | instid1(VALU_DEP_3)
	v_dual_sub_f32 v44, v104, v105 :: v_dual_fmamk_f32 v67, v34, 0xbf3f9e67, v50
	v_fma_f32 v35, 0xbf788fa5, v31, -v35
	v_dual_add_f32 v40, v103, v40 :: v_dual_fmamk_f32 v53, v32, 0x3f62ad3f, v39
	v_mul_f32_e32 v62, 0x3f52af12, v38
	v_fma_f32 v39, 0x3f62ad3f, v32, -v39
	s_delay_alu instid0(VALU_DEP_4)
	v_add_f32_e32 v35, v103, v35
	v_fma_f32 v50, 0xbf3f9e67, v34, -v50
	v_add_f32_e32 v40, v53, v40
	v_fmamk_f32 v68, v37, 0x3f116cb1, v62
	v_dual_add_f32 v60, v28, v54 :: v_dual_mul_f32 v53, 0xbf6f5d39, v44
	v_add_f32_e32 v35, v39, v35
	s_delay_alu instid0(VALU_DEP_4) | instskip(SKIP_1) | instid1(VALU_DEP_3)
	v_dual_add_f32 v40, v67, v40 :: v_dual_mul_f32 v67, 0xbf29c268, v29
	v_dual_sub_f32 v70, v79, v102 :: v_dual_mul_f32 v71, 0xbf52af12, v36
	v_add_f32_e32 v35, v50, v35
	s_delay_alu instid0(VALU_DEP_3)
	v_dual_add_f32 v39, v68, v40 :: v_dual_fmamk_f32 v40, v31, 0xbf3f9e67, v67
	v_mul_f32_e32 v68, 0x3f7e222b, v33
	v_fma_f32 v50, 0x3f116cb1, v37, -v62
	v_fma_f32 v67, 0xbf3f9e67, v31, -v67
	v_mul_f32_e32 v138, 0x3f7e222b, v44
	v_add_f32_e32 v40, v103, v40
	s_delay_alu instid0(VALU_DEP_4) | instskip(SKIP_3) | instid1(VALU_DEP_4)
	v_dual_fmamk_f32 v62, v32, 0x3df6dbef, v68 :: v_dual_add_f32 v35, v50, v35
	v_fmamk_f32 v69, v43, 0xbeb58ec6, v53
	v_fma_f32 v50, 0xbeb58ec6, v43, -v53
	v_mul_f32_e32 v72, 0x3f7e222b, v70
	v_add_f32_e32 v40, v62, v40
	v_fma_f32 v68, 0x3df6dbef, v32, -v68
	v_add_f32_e32 v39, v69, v39
	v_add_f32_e32 v35, v50, v35
	v_fmamk_f32 v69, v60, 0x3df6dbef, v72
	v_mul_f32_e32 v62, 0x3e750f2a, v38
	v_fma_f32 v72, 0x3df6dbef, v60, -v72
	v_add_f32_e32 v67, v103, v67
	v_mul_f32_e32 v137, 0xbe750f2a, v36
	v_add_f32_e32 v39, v69, v39
	v_mul_f32_e32 v69, 0xbf6f5d39, v29
	v_dual_fmamk_f32 v50, v37, 0xbf788fa5, v62 :: v_dual_add_f32 v35, v72, v35
	v_add_f32_e32 v67, v68, v67
	v_fma_f32 v68, 0x3f116cb1, v34, -v71
	s_delay_alu instid0(VALU_DEP_4) | instskip(SKIP_3) | instid1(VALU_DEP_4)
	v_fmamk_f32 v72, v31, 0xbeb58ec6, v69
	v_fmamk_f32 v53, v34, 0x3f116cb1, v71
	v_mul_f32_e32 v132, 0x3eedf032, v36
	v_fma_f32 v62, 0xbf788fa5, v37, -v62
	v_dual_add_f32 v67, v68, v67 :: v_dual_add_f32 v72, v103, v72
	s_delay_alu instid0(VALU_DEP_4) | instskip(NEXT) | instid1(VALU_DEP_2)
	v_add_f32_e32 v40, v53, v40
	v_dual_mul_f32 v53, 0x3eedf032, v44 :: v_dual_add_f32 v62, v62, v67
	s_delay_alu instid0(VALU_DEP_2) | instskip(NEXT) | instid1(VALU_DEP_2)
	v_add_f32_e32 v40, v50, v40
	v_fmamk_f32 v50, v43, 0x3f62ad3f, v53
	v_fma_f32 v53, 0x3f62ad3f, v43, -v53
	s_delay_alu instid0(VALU_DEP_2) | instskip(SKIP_2) | instid1(VALU_DEP_4)
	v_add_f32_e32 v40, v50, v40
	v_fma_f32 v67, 0xbeb58ec6, v31, -v69
	v_mul_f32_e32 v50, 0xbf6f5d39, v70
	v_add_f32_e32 v53, v53, v62
	s_delay_alu instid0(VALU_DEP_3) | instskip(NEXT) | instid1(VALU_DEP_3)
	v_add_f32_e32 v67, v103, v67
	v_fmamk_f32 v71, v60, 0xbeb58ec6, v50
	v_mul_f32_e32 v73, 0x3f29c268, v33
	v_fma_f32 v50, 0xbeb58ec6, v60, -v50
	s_delay_alu instid0(VALU_DEP_3) | instskip(NEXT) | instid1(VALU_DEP_3)
	v_add_f32_e32 v40, v71, v40
	v_fmamk_f32 v74, v32, 0xbf3f9e67, v73
	v_fmamk_f32 v71, v34, 0x3f62ad3f, v132
	v_fma_f32 v73, 0xbf3f9e67, v32, -v73
	s_delay_alu instid0(VALU_DEP_3) | instskip(NEXT) | instid1(VALU_DEP_2)
	v_add_f32_e32 v68, v74, v72
	v_dual_mul_f32 v72, 0xbf7e222b, v38 :: v_dual_add_f32 v67, v73, v67
	v_fma_f32 v73, 0x3f62ad3f, v34, -v132
	s_delay_alu instid0(VALU_DEP_2) | instskip(SKIP_1) | instid1(VALU_DEP_3)
	v_dual_add_f32 v68, v71, v68 :: v_dual_fmamk_f32 v69, v37, 0x3df6dbef, v72
	v_fma_f32 v72, 0x3df6dbef, v37, -v72
	v_dual_add_f32 v67, v73, v67 :: v_dual_add_f32 v50, v50, v53
	s_delay_alu instid0(VALU_DEP_3) | instskip(SKIP_1) | instid1(VALU_DEP_1)
	v_dual_add_f32 v62, v69, v68 :: v_dual_mul_f32 v69, 0x3f52af12, v70
	v_mul_f32_e32 v71, 0x3e750f2a, v44
	v_dual_add_f32 v67, v72, v67 :: v_dual_fmamk_f32 v68, v43, 0xbf788fa5, v71
	s_delay_alu instid0(VALU_DEP_1) | instskip(SKIP_3) | instid1(VALU_DEP_3)
	v_add_f32_e32 v62, v68, v62
	v_fma_f32 v71, 0xbf788fa5, v43, -v71
	v_fmamk_f32 v68, v60, 0x3f116cb1, v69
	v_fma_f32 v69, 0x3f116cb1, v60, -v69
	v_dual_add_f32 v67, v71, v67 :: v_dual_mul_f32 v74, 0xbf7e222b, v29
	s_delay_alu instid0(VALU_DEP_3) | instskip(NEXT) | instid1(VALU_DEP_2)
	v_add_f32_e32 v53, v68, v62
	v_dual_add_f32 v67, v69, v67 :: v_dual_fmamk_f32 v62, v31, 0x3df6dbef, v74
	v_fma_f32 v72, 0x3df6dbef, v31, -v74
	v_mul_f32_e32 v68, 0xbe750f2a, v33
	v_mul_f32_e32 v74, 0x3f6f5d39, v36
	s_delay_alu instid0(VALU_DEP_3) | instskip(NEXT) | instid1(VALU_DEP_3)
	v_add_f32_e32 v71, v103, v72
	v_dual_add_f32 v62, v103, v62 :: v_dual_fmamk_f32 v73, v32, 0xbf788fa5, v68
	v_fma_f32 v68, 0xbf788fa5, v32, -v68
	s_delay_alu instid0(VALU_DEP_4) | instskip(NEXT) | instid1(VALU_DEP_2)
	v_fmamk_f32 v72, v34, 0xbeb58ec6, v74
	v_add_f32_e32 v68, v68, v71
	v_fma_f32 v71, 0xbeb58ec6, v34, -v74
	v_mul_f32_e32 v74, 0xbf52af12, v44
	v_add_f32_e32 v62, v73, v62
	s_delay_alu instid0(VALU_DEP_3) | instskip(NEXT) | instid1(VALU_DEP_2)
	v_dual_mul_f32 v73, 0x3eedf032, v38 :: v_dual_add_f32 v68, v71, v68
	v_dual_fmamk_f32 v71, v43, 0x3f116cb1, v74 :: v_dual_add_f32 v62, v72, v62
	s_delay_alu instid0(VALU_DEP_2) | instskip(SKIP_2) | instid1(VALU_DEP_3)
	v_fmamk_f32 v72, v37, 0x3f62ad3f, v73
	v_fma_f32 v69, 0x3f62ad3f, v37, -v73
	v_mul_f32_e32 v73, 0xbf29c268, v70
	v_add_f32_e32 v62, v72, v62
	v_mul_f32_e32 v72, 0xbf52af12, v29
	s_delay_alu instid0(VALU_DEP_4) | instskip(SKIP_4) | instid1(VALU_DEP_4)
	v_add_f32_e32 v68, v69, v68
	v_fma_f32 v69, 0x3f116cb1, v43, -v74
	v_mul_f32_e32 v74, 0xbf6f5d39, v33
	v_add_f32_e32 v62, v71, v62
	v_fmamk_f32 v71, v31, 0x3f116cb1, v72
	v_dual_mul_f32 v33, 0xbf52af12, v33 :: v_dual_add_f32 v68, v69, v68
	v_fma_f32 v69, 0x3f116cb1, v31, -v72
	v_fmamk_f32 v72, v32, 0xbeb58ec6, v74
	v_fma_f32 v74, 0xbeb58ec6, v32, -v74
	v_add_f32_e32 v71, v103, v71
	v_mul_f32_e32 v29, 0xbeedf032, v29
	v_add_f32_e32 v69, v103, v69
	s_delay_alu instid0(VALU_DEP_3) | instskip(NEXT) | instid1(VALU_DEP_2)
	v_dual_add_f32 v71, v72, v71 :: v_dual_fmamk_f32 v72, v34, 0xbf788fa5, v137
	v_add_f32_e32 v69, v74, v69
	v_fma_f32 v74, 0xbf788fa5, v34, -v137
	v_fmamk_f32 v132, v60, 0xbf3f9e67, v73
	v_fma_f32 v73, 0xbf3f9e67, v60, -v73
	s_delay_alu instid0(VALU_DEP_1) | instskip(SKIP_2) | instid1(VALU_DEP_2)
	v_dual_add_f32 v69, v74, v69 :: v_dual_add_f32 v68, v73, v68
	v_mul_f32_e32 v73, 0x3f29c268, v38
	v_mul_f32_e32 v38, 0xbf6f5d39, v38
	v_fmamk_f32 v137, v37, 0xbf3f9e67, v73
	v_fma_f32 v73, 0xbf3f9e67, v37, -v73
	s_delay_alu instid0(VALU_DEP_1) | instskip(SKIP_1) | instid1(VALU_DEP_1)
	v_add_f32_e32 v69, v73, v69
	v_fma_f32 v73, 0x3df6dbef, v43, -v138
	v_add_f32_e32 v69, v73, v69
	v_fma_f32 v73, 0x3f62ad3f, v31, -v29
	v_fmamk_f32 v29, v31, 0x3f62ad3f, v29
	v_dual_add_f32 v71, v72, v71 :: v_dual_mul_f32 v36, 0xbf7e222b, v36
	s_delay_alu instid0(VALU_DEP_3) | instskip(NEXT) | instid1(VALU_DEP_3)
	v_add_f32_e32 v31, v103, v73
	v_add_f32_e32 v29, v103, v29
	v_fma_f32 v73, 0x3f116cb1, v32, -v33
	s_delay_alu instid0(VALU_DEP_4) | instskip(SKIP_2) | instid1(VALU_DEP_4)
	v_dual_fmamk_f32 v32, v32, 0x3f116cb1, v33 :: v_dual_add_f32 v71, v137, v71
	v_fmamk_f32 v74, v43, 0x3df6dbef, v138
	v_fma_f32 v33, 0x3df6dbef, v34, -v36
	v_add_f32_e32 v31, v73, v31
	s_delay_alu instid0(VALU_DEP_4) | instskip(NEXT) | instid1(VALU_DEP_4)
	v_dual_add_f32 v29, v32, v29 :: v_dual_add_f32 v72, v103, v66
	v_add_f32_e32 v71, v74, v71
	s_delay_alu instid0(VALU_DEP_3) | instskip(SKIP_1) | instid1(VALU_DEP_4)
	v_dual_fmamk_f32 v32, v34, 0x3df6dbef, v36 :: v_dual_add_f32 v31, v33, v31
	v_fma_f32 v34, 0xbeb58ec6, v37, -v38
	v_dual_add_f32 v72, v72, v65 :: v_dual_mul_f32 v137, 0x3eedf032, v70
	s_delay_alu instid0(VALU_DEP_1) | instskip(NEXT) | instid1(VALU_DEP_1)
	v_dual_add_f32 v31, v34, v31 :: v_dual_add_f32 v72, v72, v64
	v_add_f32_e32 v72, v72, v63
	s_delay_alu instid0(VALU_DEP_1) | instskip(NEXT) | instid1(VALU_DEP_1)
	v_add_f32_e32 v72, v72, v61
	v_add_f32_e32 v72, v72, v28
	s_delay_alu instid0(VALU_DEP_1) | instskip(NEXT) | instid1(VALU_DEP_1)
	v_add_f32_e32 v72, v72, v54
	v_add_f32_e32 v33, v72, v57
	v_fmamk_f32 v74, v60, 0x3f62ad3f, v137
	v_fma_f32 v137, 0x3f62ad3f, v60, -v137
	s_delay_alu instid0(VALU_DEP_3) | instskip(NEXT) | instid1(VALU_DEP_1)
	v_add_f32_e32 v33, v33, v58
	v_add_f32_e32 v33, v33, v55
	s_delay_alu instid0(VALU_DEP_1) | instskip(NEXT) | instid1(VALU_DEP_1)
	v_add_f32_e32 v33, v33, v56
	v_dual_add_f32 v33, v33, v59 :: v_dual_mul_f32 v36, 0xbf29c268, v44
	v_add_f32_e32 v29, v32, v29
	s_delay_alu instid0(VALU_DEP_2) | instskip(SKIP_2) | instid1(VALU_DEP_3)
	v_fma_f32 v34, 0xbf3f9e67, v43, -v36
	v_fmamk_f32 v32, v37, 0xbeb58ec6, v38
	v_mul_lo_u32 v37, v75, 52
	v_dual_add_f32 v31, v34, v31 :: v_dual_mul_f32 v38, 0xbe750f2a, v70
	s_delay_alu instid0(VALU_DEP_3) | instskip(NEXT) | instid1(VALU_DEP_2)
	v_add_f32_e32 v29, v32, v29
	v_fma_f32 v34, 0xbf788fa5, v60, -v38
	v_fmamk_f32 v32, v43, 0xbf3f9e67, v36
	v_or_b32_e32 v36, v37, v22
	v_add_f32_e32 v37, v132, v62
	s_delay_alu instid0(VALU_DEP_4) | instskip(NEXT) | instid1(VALU_DEP_4)
	v_add_f32_e32 v31, v34, v31
	v_add_f32_e32 v29, v32, v29
	v_fmamk_f32 v32, v60, 0xbf788fa5, v38
	v_add_f32_e32 v38, v74, v71
	v_lshl_add_u32 v34, v36, 2, 0
	v_add_f32_e32 v36, v137, v69
	s_delay_alu instid0(VALU_DEP_4)
	v_add_f32_e32 v29, v32, v29
	ds_store_2addr_b32 v34, v33, v31 offset1:4
	ds_store_2addr_b32 v34, v36, v68 offset0:8 offset1:12
	ds_store_2addr_b32 v34, v67, v50 offset0:16 offset1:20
	;; [unrolled: 1-line block ×5, first 2 shown]
	ds_store_b32 v34, v29 offset:192
.LBB0_19:
	s_wait_alu 0xfffe
	s_or_b32 exec_lo, exec_lo, s1
	v_dual_sub_f32 v31, v136, v48 :: v_dual_add_f32 v32, v134, v130
	v_add_f32_e32 v29, v27, v134
	v_dual_add_f32 v33, v133, v131 :: v_dual_sub_f32 v34, v135, v42
	s_delay_alu instid0(VALU_DEP_3) | instskip(NEXT) | instid1(VALU_DEP_3)
	v_mul_f32_e32 v36, 0xbf52af12, v31
	v_dual_mul_f32 v38, 0xbf6f5d39, v31 :: v_dual_add_f32 v29, v29, v133
	v_mul_f32_e32 v35, 0xbeedf032, v31
	s_delay_alu instid0(VALU_DEP_4)
	v_dual_sub_f32 v41, v52, v41 :: v_dual_mul_f32 v40, 0xbf52af12, v34
	global_wb scope:SCOPE_SE
	s_wait_dscnt 0x0
	v_add_f32_e32 v29, v29, v128
	s_barrier_signal -1
	s_barrier_wait -1
	v_fmamk_f32 v48, v32, 0x3f62ad3f, v35
	global_inv scope:SCOPE_SE
	v_add_f32_e32 v29, v29, v126
	v_dual_mul_f32 v42, 0xbf6f5d39, v34 :: v_dual_add_f32 v71, v122, v123
	v_add_f32_e32 v48, v27, v48
	v_fma_f32 v35, 0x3f62ad3f, v32, -v35
	s_delay_alu instid0(VALU_DEP_4) | instskip(SKIP_2) | instid1(VALU_DEP_4)
	v_dual_add_f32 v29, v29, v124 :: v_dual_fmamk_f32 v50, v32, 0x3f116cb1, v36
	v_fma_f32 v36, 0x3f116cb1, v32, -v36
	v_mul_f32_e32 v39, 0xbf29c268, v31
	v_add_f32_e32 v35, v27, v35
	s_delay_alu instid0(VALU_DEP_4) | instskip(SKIP_2) | instid1(VALU_DEP_3)
	v_add_f32_e32 v29, v29, v122
	v_mul_f32_e32 v44, 0x3f29c268, v34
	v_dual_mul_f32 v37, 0xbf7e222b, v31 :: v_dual_add_f32 v50, v27, v50
	v_dual_add_f32 v36, v27, v36 :: v_dual_add_f32 v29, v29, v123
	v_fmamk_f32 v60, v32, 0xbeb58ec6, v38
	v_fma_f32 v38, 0xbeb58ec6, v32, -v38
	s_delay_alu instid0(VALU_DEP_4) | instskip(SKIP_3) | instid1(VALU_DEP_3)
	v_fmamk_f32 v53, v32, 0x3df6dbef, v37
	v_fma_f32 v37, 0x3df6dbef, v32, -v37
	v_add_f32_e32 v29, v29, v125
	v_dual_mul_f32 v31, 0xbe750f2a, v31 :: v_dual_add_f32 v60, v27, v60
	v_dual_fmamk_f32 v68, v33, 0xbeb58ec6, v42 :: v_dual_add_f32 v37, v27, v37
	v_fma_f32 v42, 0xbeb58ec6, v33, -v42
	s_delay_alu instid0(VALU_DEP_4)
	v_dual_add_f32 v29, v29, v127 :: v_dual_fmamk_f32 v62, v32, 0xbf3f9e67, v39
	v_fma_f32 v39, 0xbf3f9e67, v32, -v39
	v_fmamk_f32 v67, v32, 0xbf788fa5, v31
	v_fma_f32 v31, 0xbf788fa5, v32, -v31
	v_add_f32_e32 v38, v27, v38
	v_add_f32_e32 v62, v27, v62
	v_dual_fmamk_f32 v32, v33, 0x3f116cb1, v40 :: v_dual_add_f32 v53, v27, v53
	v_fma_f32 v40, 0x3f116cb1, v33, -v40
	v_dual_mul_f32 v43, 0xbe750f2a, v34 :: v_dual_add_f32 v36, v42, v36
	v_add_f32_e32 v29, v29, v129
	v_add_f32_e32 v39, v27, v39
	v_add_f32_e32 v67, v27, v67
	v_add_f32_e32 v27, v27, v31
	v_add_f32_e32 v31, v32, v48
	v_add_f32_e32 v32, v40, v35
	v_fmamk_f32 v40, v33, 0xbf788fa5, v43
	v_fma_f32 v42, 0xbf788fa5, v33, -v43
	v_fmamk_f32 v43, v33, 0xbf3f9e67, v44
	v_fma_f32 v44, 0xbf3f9e67, v33, -v44
	v_dual_mul_f32 v48, 0x3f7e222b, v34 :: v_dual_add_f32 v29, v29, v131
	v_add_f32_e32 v40, v40, v53
	v_mul_f32_e32 v34, 0x3eedf032, v34
	v_add_f32_e32 v35, v68, v50
	v_add_f32_e32 v38, v44, v38
	;; [unrolled: 1-line block ×3, first 2 shown]
	v_fma_f32 v44, 0x3df6dbef, v33, -v48
	v_dual_add_f32 v37, v42, v37 :: v_dual_add_f32 v42, v43, v60
	v_mul_f32_e32 v50, 0xbf7e222b, v41
	v_fmamk_f32 v52, v33, 0x3f62ad3f, v34
	v_dual_fmamk_f32 v43, v33, 0x3df6dbef, v48 :: v_dual_add_f32 v48, v128, v129
	v_fma_f32 v33, 0x3f62ad3f, v33, -v34
	v_add_f32_e32 v34, v44, v39
	s_delay_alu instid0(VALU_DEP_4) | instskip(NEXT) | instid1(VALU_DEP_4)
	v_add_f32_e32 v52, v52, v67
	v_fmamk_f32 v39, v48, 0x3df6dbef, v50
	s_delay_alu instid0(VALU_DEP_4) | instskip(SKIP_1) | instid1(VALU_DEP_1)
	v_add_f32_e32 v27, v33, v27
	v_fma_f32 v33, 0x3df6dbef, v48, -v50
	v_dual_add_f32 v31, v39, v31 :: v_dual_add_f32 v32, v33, v32
	v_dual_add_f32 v43, v43, v62 :: v_dual_mul_f32 v44, 0xbe750f2a, v41
	v_mul_f32_e32 v50, 0x3f6f5d39, v41
	v_mul_f32_e32 v33, 0x3eedf032, v41
	s_delay_alu instid0(VALU_DEP_3) | instskip(SKIP_1) | instid1(VALU_DEP_2)
	v_fmamk_f32 v39, v48, 0xbf788fa5, v44
	v_fma_f32 v44, 0xbf788fa5, v48, -v44
	v_add_f32_e32 v35, v39, v35
	v_fmamk_f32 v39, v48, 0xbeb58ec6, v50
	s_delay_alu instid0(VALU_DEP_3) | instskip(SKIP_4) | instid1(VALU_DEP_3)
	v_add_f32_e32 v36, v44, v36
	v_fma_f32 v44, 0xbeb58ec6, v48, -v50
	v_fmamk_f32 v50, v48, 0x3f62ad3f, v33
	v_fma_f32 v33, 0x3f62ad3f, v48, -v33
	v_dual_add_f32 v39, v39, v40 :: v_dual_mul_f32 v40, 0xbf52af12, v41
	v_add_f32_e32 v42, v50, v42
	s_delay_alu instid0(VALU_DEP_3) | instskip(SKIP_1) | instid1(VALU_DEP_4)
	v_add_f32_e32 v33, v33, v38
	v_dual_sub_f32 v38, v51, v46 :: v_dual_add_f32 v37, v44, v37
	v_fmamk_f32 v44, v48, 0x3f116cb1, v40
	v_fma_f32 v40, 0x3f116cb1, v48, -v40
	v_dual_mul_f32 v41, 0xbf29c268, v41 :: v_dual_add_f32 v46, v126, v127
	s_delay_alu instid0(VALU_DEP_3) | instskip(NEXT) | instid1(VALU_DEP_3)
	v_dual_mul_f32 v50, 0xbf6f5d39, v38 :: v_dual_add_f32 v43, v44, v43
	v_add_f32_e32 v34, v40, v34
	s_delay_alu instid0(VALU_DEP_3) | instskip(SKIP_1) | instid1(VALU_DEP_4)
	v_fmamk_f32 v44, v48, 0xbf3f9e67, v41
	v_fma_f32 v41, 0xbf3f9e67, v48, -v41
	v_fmamk_f32 v40, v46, 0xbeb58ec6, v50
	v_mul_f32_e32 v48, 0x3f29c268, v38
	v_add_nc_u32_e32 v51, 0x800, v78
	s_delay_alu instid0(VALU_DEP_4) | instskip(NEXT) | instid1(VALU_DEP_4)
	v_add_f32_e32 v27, v41, v27
	v_add_f32_e32 v31, v40, v31
	v_fma_f32 v41, 0xbeb58ec6, v46, -v50
	v_fmamk_f32 v40, v46, 0xbf3f9e67, v48
	v_mul_f32_e32 v50, 0x3eedf032, v38
	v_fma_f32 v48, 0xbf3f9e67, v46, -v48
	v_add_f32_e32 v44, v44, v52
	v_dual_add_f32 v32, v41, v32 :: v_dual_mul_f32 v41, 0xbf7e222b, v38
	s_delay_alu instid0(VALU_DEP_3) | instskip(SKIP_1) | instid1(VALU_DEP_1)
	v_add_f32_e32 v36, v48, v36
	v_fma_f32 v48, 0x3f62ad3f, v46, -v50
	v_add_f32_e32 v37, v48, v37
	v_dual_add_f32 v35, v40, v35 :: v_dual_fmamk_f32 v40, v46, 0x3f62ad3f, v50
	v_fmamk_f32 v50, v46, 0x3df6dbef, v41
	v_fma_f32 v41, 0x3df6dbef, v46, -v41
	v_add_f32_e32 v48, v124, v125
	v_dual_sub_f32 v30, v30, v47 :: v_dual_add_nc_u32 v47, v9, v117
	s_delay_alu instid0(VALU_DEP_3) | instskip(SKIP_2) | instid1(VALU_DEP_2)
	v_add_f32_e32 v33, v41, v33
	v_dual_add_f32 v39, v40, v39 :: v_dual_mul_f32 v40, 0x3e750f2a, v38
	v_dual_sub_f32 v41, v49, v45 :: v_dual_add_f32 v42, v50, v42
	v_dual_fmamk_f32 v45, v46, 0xbf788fa5, v40 :: v_dual_add_nc_u32 v50, v20, v115
	s_delay_alu instid0(VALU_DEP_2) | instskip(NEXT) | instid1(VALU_DEP_2)
	v_mul_f32_e32 v49, 0xbf29c268, v41
	v_add_f32_e32 v43, v45, v43
	v_fma_f32 v40, 0xbf788fa5, v46, -v40
	s_delay_alu instid0(VALU_DEP_1) | instskip(NEXT) | instid1(VALU_DEP_4)
	v_add_f32_e32 v34, v40, v34
	v_fmamk_f32 v40, v48, 0xbf3f9e67, v49
	s_delay_alu instid0(VALU_DEP_1) | instskip(NEXT) | instid1(VALU_DEP_1)
	v_dual_mul_f32 v38, 0x3f52af12, v38 :: v_dual_add_f32 v31, v40, v31
	v_fmamk_f32 v45, v46, 0x3f116cb1, v38
	v_fma_f32 v38, 0x3f116cb1, v46, -v38
	v_mul_f32_e32 v46, 0x3f7e222b, v41
	s_delay_alu instid0(VALU_DEP_3) | instskip(NEXT) | instid1(VALU_DEP_3)
	v_dual_add_f32 v44, v45, v44 :: v_dual_mul_f32 v45, 0xbf52af12, v41
	v_add_f32_e32 v27, v38, v27
	v_fma_f32 v38, 0xbf3f9e67, v48, -v49
	s_delay_alu instid0(VALU_DEP_4) | instskip(SKIP_1) | instid1(VALU_DEP_2)
	v_fmamk_f32 v40, v48, 0x3df6dbef, v46
	v_add_nc_u32_e32 v49, v16, v116
	v_add_f32_e32 v35, v40, v35
	v_fma_f32 v46, 0x3df6dbef, v48, -v46
	v_fmamk_f32 v40, v48, 0x3f116cb1, v45
	v_add_f32_e32 v32, v38, v32
	v_mul_f32_e32 v38, 0x3e750f2a, v41
	v_fma_f32 v45, 0x3f116cb1, v48, -v45
	s_delay_alu instid0(VALU_DEP_4) | instskip(SKIP_1) | instid1(VALU_DEP_4)
	v_dual_add_f32 v39, v40, v39 :: v_dual_mul_f32 v40, 0x3eedf032, v41
	v_add_f32_e32 v36, v46, v36
	v_fmamk_f32 v46, v48, 0xbf788fa5, v38
	v_fma_f32 v38, 0xbf788fa5, v48, -v38
	v_add_f32_e32 v37, v45, v37
	s_delay_alu instid0(VALU_DEP_2) | instskip(SKIP_3) | instid1(VALU_DEP_2)
	v_dual_add_f32 v70, v38, v33 :: v_dual_add_nc_u32 v45, v11, v120
	v_fmamk_f32 v33, v48, 0x3f62ad3f, v40
	v_mul_f32_e32 v38, 0xbf6f5d39, v41
	v_fma_f32 v40, 0x3f62ad3f, v48, -v40
	v_dual_add_f32 v72, v33, v43 :: v_dual_fmamk_f32 v33, v48, 0xbeb58ec6, v38
	v_mul_f32_e32 v125, 0xbf6f5d39, v30
	v_mul_f32_e32 v41, 0xbe750f2a, v30
	s_delay_alu instid0(VALU_DEP_4) | instskip(SKIP_2) | instid1(VALU_DEP_4)
	v_add_f32_e32 v73, v40, v34
	v_fma_f32 v34, 0xbeb58ec6, v48, -v38
	v_dual_mul_f32 v40, 0x3eedf032, v30 :: v_dual_add_nc_u32 v43, v5, v77
	v_fmamk_f32 v38, v71, 0xbf788fa5, v41
	v_mul_f32_e32 v131, 0x3f7e222b, v30
	s_delay_alu instid0(VALU_DEP_4) | instskip(SKIP_4) | instid1(VALU_DEP_3)
	v_dual_add_f32 v27, v34, v27 :: v_dual_mul_f32 v34, 0xbf29c268, v30
	v_add_f32_e32 v74, v33, v44
	v_fma_f32 v33, 0xbf788fa5, v71, -v41
	v_add_f32_e32 v103, v38, v31
	v_dual_add_f32 v42, v46, v42 :: v_dual_fmamk_f32 v31, v71, 0x3f62ad3f, v40
	v_dual_add_f32 v122, v33, v32 :: v_dual_add_nc_u32 v5, 0x1000, v78
	v_mul_f32_e32 v32, 0x3f52af12, v30
	v_fma_f32 v33, 0x3f62ad3f, v71, -v40
	s_delay_alu instid0(VALU_DEP_4) | instskip(SKIP_2) | instid1(VALU_DEP_4)
	v_add_f32_e32 v123, v31, v35
	v_fmamk_f32 v31, v71, 0xbf3f9e67, v34
	v_fma_f32 v34, 0xbf3f9e67, v71, -v34
	v_dual_fmamk_f32 v35, v71, 0x3f116cb1, v32 :: v_dual_add_f32 v124, v33, v36
	v_fma_f32 v129, 0x3f116cb1, v71, -v32
	s_delay_alu instid0(VALU_DEP_3) | instskip(NEXT) | instid1(VALU_DEP_3)
	v_dual_add_f32 v126, v31, v39 :: v_dual_add_f32 v127, v34, v37
	v_add_f32_e32 v128, v35, v42
	v_add_nc_u32_e32 v42, v1, v76
	v_fma_f32 v1, 0xbeb58ec6, v71, -v125
	v_fmamk_f32 v130, v71, 0xbeb58ec6, v125
	v_fmamk_f32 v76, v71, 0x3df6dbef, v131
	v_fma_f32 v71, 0x3df6dbef, v71, -v131
	s_delay_alu instid0(VALU_DEP_4) | instskip(NEXT) | instid1(VALU_DEP_4)
	v_dual_add_f32 v1, v1, v73 :: v_dual_add_nc_u32 v52, 0xa00, v78
	v_dual_add_f32 v72, v130, v72 :: v_dual_add_nc_u32 v53, 0xc00, v78
	v_add_nc_u32_e32 v44, v7, v121
	v_add_nc_u32_e32 v46, v18, v119
	v_add_nc_u32_e32 v48, v13, v118
	v_add_f32_e32 v73, v76, v74
	v_add_f32_e32 v27, v71, v27
	ds_load_2addr_b32 v[40:41], v51 offset0:112 offset1:164
	ds_load_2addr_b32 v[32:33], v52 offset0:88 offset1:140
	ds_load_2addr_b32 v[30:31], v53 offset0:64 offset1:116
	ds_load_2addr_b32 v[34:35], v53 offset0:168 offset1:220
	ds_load_b32 v69, v78
	ds_load_b32 v68, v100
	ds_load_b32 v67, v101
	ds_load_b32 v62, v42
	ds_load_b32 v60, v43
	ds_load_b32 v18, v44
	ds_load_b32 v11, v45
	ds_load_b32 v7, v46
	ds_load_2addr_b32 v[36:37], v5 offset0:16 offset1:68
	ds_load_2addr_b32 v[38:39], v5 offset0:120 offset1:172
	ds_load_b32 v20, v47
	ds_load_b32 v16, v48
	;; [unrolled: 1-line block ×4, first 2 shown]
	v_add_f32_e32 v70, v129, v70
	global_wb scope:SCOPE_SE
	s_wait_dscnt 0x0
	s_barrier_signal -1
	s_barrier_wait -1
	global_inv scope:SCOPE_SE
	ds_store_2addr_b32 v113, v29, v103 offset1:4
	ds_store_2addr_b32 v113, v123, v126 offset0:8 offset1:12
	ds_store_2addr_b32 v113, v128, v72 offset0:16 offset1:20
	;; [unrolled: 1-line block ×5, first 2 shown]
	ds_store_b32 v113, v122 offset:192
	s_and_saveexec_b32 s1, s0
	s_cbranch_execz .LBB0_21
; %bb.20:
	v_dual_sub_f32 v27, v66, v59 :: v_dual_sub_f32 v56, v65, v56
	v_add_f32_e32 v1, v25, v114
	v_add_f32_e32 v29, v114, v110
	;; [unrolled: 1-line block ×3, first 2 shown]
	s_delay_alu instid0(VALU_DEP_4) | instskip(SKIP_3) | instid1(VALU_DEP_3)
	v_mul_f32_e32 v66, 0xbf52af12, v27
	v_mul_f32_e32 v74, 0xbf6f5d39, v56
	v_dual_add_f32 v1, v1, v112 :: v_dual_mul_f32 v72, 0xbf29c268, v27
	v_mul_f32_e32 v70, 0xbf7e222b, v27
	v_dual_sub_f32 v55, v64, v55 :: v_dual_fmamk_f32 v116, v59, 0xbeb58ec6, v74
	s_delay_alu instid0(VALU_DEP_3) | instskip(NEXT) | instid1(VALU_DEP_4)
	v_add_f32_e32 v1, v1, v108
	v_fmamk_f32 v114, v29, 0xbf3f9e67, v72
	s_delay_alu instid0(VALU_DEP_4)
	v_fmamk_f32 v112, v29, 0x3df6dbef, v70
	v_mul_f32_e32 v71, 0xbf6f5d39, v27
	v_mul_f32_e32 v76, 0xbe750f2a, v56
	v_fma_f32 v70, 0x3df6dbef, v29, -v70
	v_mul_f32_e32 v73, 0xbf52af12, v56
	v_add_f32_e32 v112, v25, v112
	v_fmamk_f32 v103, v29, 0x3f116cb1, v66
	v_fma_f32 v66, 0x3f116cb1, v29, -v66
	v_mul_f32_e32 v65, 0xbeedf032, v27
	v_mul_f32_e32 v27, 0xbe750f2a, v27
	v_fma_f32 v74, 0xbeb58ec6, v59, -v74
	v_add_f32_e32 v1, v1, v106
	v_add_f32_e32 v66, v25, v66
	v_fmamk_f32 v77, v29, 0x3f62ad3f, v65
	v_fma_f32 v65, 0x3f62ad3f, v29, -v65
	v_fmamk_f32 v115, v29, 0xbf788fa5, v27
	v_fma_f32 v72, 0xbf3f9e67, v29, -v72
	v_fma_f32 v27, 0xbf788fa5, v29, -v27
	v_add_f32_e32 v70, v25, v70
	v_add_f32_e32 v114, v25, v114
	v_fmamk_f32 v113, v29, 0xbeb58ec6, v71
	v_fma_f32 v71, 0xbeb58ec6, v29, -v71
	v_dual_fmamk_f32 v29, v59, 0x3f116cb1, v73 :: v_dual_add_f32 v72, v25, v72
	v_fma_f32 v73, 0x3f116cb1, v59, -v73
	v_add_f32_e32 v115, v25, v115
	v_dual_add_f32 v65, v25, v65 :: v_dual_add_f32 v66, v74, v66
	v_dual_add_f32 v77, v25, v77 :: v_dual_fmamk_f32 v74, v59, 0xbf788fa5, v76
	v_add_f32_e32 v71, v25, v71
	v_fma_f32 v76, 0xbf788fa5, v59, -v76
	v_add_f32_e32 v1, v1, v104
	s_delay_alu instid0(VALU_DEP_4)
	v_dual_sub_f32 v57, v61, v57 :: v_dual_add_f32 v74, v74, v112
	v_add_f32_e32 v103, v25, v103
	v_add_f32_e32 v113, v25, v113
	;; [unrolled: 1-line block ×5, first 2 shown]
	v_mul_f32_e32 v73, 0x3f29c268, v56
	v_add_f32_e32 v65, v116, v103
	v_dual_add_f32 v70, v76, v70 :: v_dual_mul_f32 v77, 0x3f7e222b, v56
	v_add_f32_e32 v1, v1, v79
	s_delay_alu instid0(VALU_DEP_4) | instskip(SKIP_2) | instid1(VALU_DEP_4)
	v_fmamk_f32 v103, v59, 0xbf3f9e67, v73
	v_fma_f32 v73, 0xbf3f9e67, v59, -v73
	v_mul_f32_e32 v56, 0x3eedf032, v56
	v_dual_fmamk_f32 v76, v59, 0x3df6dbef, v77 :: v_dual_add_f32 v1, v1, v102
	s_delay_alu instid0(VALU_DEP_3) | instskip(SKIP_1) | instid1(VALU_DEP_3)
	v_dual_sub_f32 v58, v63, v58 :: v_dual_add_f32 v71, v73, v71
	v_fma_f32 v73, 0x3df6dbef, v59, -v77
	v_dual_add_f32 v64, v76, v114 :: v_dual_add_f32 v1, v1, v105
	v_add_f32_e32 v76, v108, v109
	v_fmamk_f32 v108, v59, 0x3f62ad3f, v56
	v_mul_f32_e32 v77, 0xbf7e222b, v55
	v_fma_f32 v56, 0x3f62ad3f, v59, -v56
	v_dual_add_f32 v59, v73, v72 :: v_dual_mul_f32 v72, 0xbe750f2a, v55
	v_sub_f32_e32 v28, v28, v54
	s_delay_alu instid0(VALU_DEP_4) | instskip(NEXT) | instid1(VALU_DEP_4)
	v_fmamk_f32 v73, v76, 0x3df6dbef, v77
	v_add_f32_e32 v25, v56, v25
	v_fma_f32 v56, 0x3df6dbef, v76, -v77
	v_fmamk_f32 v77, v76, 0xbf788fa5, v72
	v_fma_f32 v72, 0xbf788fa5, v76, -v72
	v_add_f32_e32 v27, v73, v27
	s_delay_alu instid0(VALU_DEP_4) | instskip(NEXT) | instid1(VALU_DEP_4)
	v_add_f32_e32 v29, v56, v29
	v_dual_add_f32 v56, v77, v65 :: v_dual_mul_f32 v73, 0x3f6f5d39, v55
	v_add_f32_e32 v1, v1, v107
	v_dual_mul_f32 v65, 0x3eedf032, v55 :: v_dual_add_f32 v66, v72, v66
	v_mul_f32_e32 v77, 0xbf52af12, v55
	s_delay_alu instid0(VALU_DEP_4) | instskip(SKIP_4) | instid1(VALU_DEP_4)
	v_fmamk_f32 v72, v76, 0xbeb58ec6, v73
	v_fma_f32 v73, 0xbeb58ec6, v76, -v73
	v_add_f32_e32 v1, v1, v109
	v_fmamk_f32 v109, v76, 0x3f62ad3f, v65
	v_fma_f32 v65, 0x3f62ad3f, v76, -v65
	v_dual_mul_f32 v55, 0xbf29c268, v55 :: v_dual_add_f32 v70, v73, v70
	v_fmamk_f32 v73, v76, 0x3f116cb1, v77
	v_add_f32_e32 v1, v1, v111
	s_delay_alu instid0(VALU_DEP_4) | instskip(SKIP_1) | instid1(VALU_DEP_4)
	v_add_f32_e32 v65, v65, v71
	v_dual_add_f32 v71, v106, v107 :: v_dual_add_f32 v72, v72, v74
	v_add_f32_e32 v63, v73, v64
	v_fma_f32 v64, 0x3f116cb1, v76, -v77
	v_mul_f32_e32 v73, 0xbf6f5d39, v58
	v_fmamk_f32 v77, v76, 0xbf3f9e67, v55
	v_fma_f32 v55, 0xbf3f9e67, v76, -v55
	v_add_f32_e32 v103, v103, v113
	v_dual_add_f32 v59, v64, v59 :: v_dual_mul_f32 v64, 0x3f29c268, v58
	v_fmamk_f32 v76, v71, 0xbeb58ec6, v73
	s_delay_alu instid0(VALU_DEP_4) | instskip(SKIP_1) | instid1(VALU_DEP_4)
	v_add_f32_e32 v25, v55, v25
	v_fma_f32 v55, 0xbeb58ec6, v71, -v73
	v_dual_add_f32 v108, v108, v115 :: v_dual_fmamk_f32 v73, v71, 0xbf3f9e67, v64
	s_delay_alu instid0(VALU_DEP_4) | instskip(SKIP_1) | instid1(VALU_DEP_4)
	v_add_f32_e32 v27, v76, v27
	v_fma_f32 v64, 0xbf3f9e67, v71, -v64
	v_dual_mul_f32 v76, 0x3eedf032, v58 :: v_dual_add_f32 v29, v55, v29
	s_delay_alu instid0(VALU_DEP_4) | instskip(NEXT) | instid1(VALU_DEP_3)
	v_dual_add_f32 v55, v73, v56 :: v_dual_mul_f32 v56, 0xbf7e222b, v58
	v_add_f32_e32 v64, v64, v66
	s_delay_alu instid0(VALU_DEP_3)
	v_fmamk_f32 v66, v71, 0x3f62ad3f, v76
	v_fma_f32 v73, 0x3f62ad3f, v71, -v76
	v_mul_f32_e32 v76, 0x3e750f2a, v58
	v_add_f32_e32 v1, v1, v110
	v_add_f32_e32 v74, v109, v103
	v_dual_add_f32 v66, v66, v72 :: v_dual_fmamk_f32 v103, v71, 0x3df6dbef, v56
	v_fma_f32 v56, 0x3df6dbef, v71, -v56
	v_fmamk_f32 v72, v71, 0xbf788fa5, v76
	v_mul_f32_e32 v58, 0x3f52af12, v58
	v_add_f32_e32 v70, v73, v70
	s_delay_alu instid0(VALU_DEP_4) | instskip(NEXT) | instid1(VALU_DEP_4)
	v_dual_add_f32 v73, v103, v74 :: v_dual_add_f32 v56, v56, v65
	v_add_f32_e32 v61, v72, v63
	v_fma_f32 v63, 0xbf788fa5, v71, -v76
	v_add_f32_e32 v65, v104, v105
	v_mul_f32_e32 v72, 0xbf29c268, v57
	v_fmamk_f32 v74, v71, 0x3f116cb1, v58
	v_fma_f32 v58, 0x3f116cb1, v71, -v58
	v_add_f32_e32 v59, v63, v59
	v_mul_f32_e32 v63, 0x3f7e222b, v57
	v_fmamk_f32 v71, v65, 0xbf3f9e67, v72
	s_delay_alu instid0(VALU_DEP_4) | instskip(SKIP_1) | instid1(VALU_DEP_3)
	v_add_f32_e32 v25, v58, v25
	v_fma_f32 v58, 0xbf3f9e67, v65, -v72
	v_dual_fmamk_f32 v72, v65, 0x3df6dbef, v63 :: v_dual_add_f32 v27, v71, v27
	v_mul_f32_e32 v71, 0xbf52af12, v57
	v_fma_f32 v63, 0x3df6dbef, v65, -v63
	s_delay_alu instid0(VALU_DEP_4) | instskip(NEXT) | instid1(VALU_DEP_4)
	v_add_f32_e32 v29, v58, v29
	v_dual_add_f32 v55, v72, v55 :: v_dual_mul_f32 v58, 0x3e750f2a, v57
	s_delay_alu instid0(VALU_DEP_3) | instskip(SKIP_2) | instid1(VALU_DEP_4)
	v_dual_fmamk_f32 v72, v65, 0x3f116cb1, v71 :: v_dual_add_f32 v63, v63, v64
	v_fma_f32 v64, 0x3f116cb1, v65, -v71
	v_mul_f32_e32 v71, 0x3eedf032, v57
	v_fmamk_f32 v76, v65, 0xbf788fa5, v58
	v_fma_f32 v58, 0xbf788fa5, v65, -v58
	s_delay_alu instid0(VALU_DEP_4) | instskip(NEXT) | instid1(VALU_DEP_4)
	v_dual_mul_f32 v57, 0xbf6f5d39, v57 :: v_dual_add_f32 v64, v64, v70
	v_fmamk_f32 v70, v65, 0x3f62ad3f, v71
	v_add_f32_e32 v66, v72, v66
	s_delay_alu instid0(VALU_DEP_4) | instskip(SKIP_1) | instid1(VALU_DEP_4)
	v_add_f32_e32 v56, v58, v56
	v_fma_f32 v58, 0x3f62ad3f, v65, -v71
	v_dual_mul_f32 v71, 0xbe750f2a, v28 :: v_dual_add_f32 v54, v70, v61
	v_dual_add_f32 v70, v79, v102 :: v_dual_add_f32 v77, v77, v108
	v_fmamk_f32 v61, v65, 0xbeb58ec6, v57
	v_fma_f32 v57, 0xbeb58ec6, v65, -v57
	v_add_f32_e32 v58, v58, v59
	s_delay_alu instid0(VALU_DEP_4)
	v_fmamk_f32 v65, v70, 0xbf788fa5, v71
	v_add_f32_e32 v74, v74, v77
	v_add_f32_e32 v72, v76, v73
	;; [unrolled: 1-line block ×3, first 2 shown]
	v_fma_f32 v57, 0xbf788fa5, v70, -v71
	v_mul_f32_e32 v71, 0xbf29c268, v28
	v_add_f32_e32 v59, v61, v74
	v_mul_f32_e32 v61, 0x3eedf032, v28
	v_add_f32_e32 v27, v65, v27
	v_add_f32_e32 v29, v57, v29
	v_fmamk_f32 v57, v70, 0xbf3f9e67, v71
	v_mul_f32_e32 v65, 0x3f52af12, v28
	v_fmamk_f32 v73, v70, 0x3f62ad3f, v61
	v_fma_f32 v61, 0x3f62ad3f, v70, -v61
	s_delay_alu instid0(VALU_DEP_4) | instskip(SKIP_1) | instid1(VALU_DEP_4)
	v_add_f32_e32 v57, v57, v66
	v_mul_lo_u32 v66, v75, 52
	v_add_f32_e32 v55, v73, v55
	s_delay_alu instid0(VALU_DEP_4) | instskip(SKIP_3) | instid1(VALU_DEP_3)
	v_add_f32_e32 v61, v61, v63
	v_fma_f32 v63, 0xbf3f9e67, v70, -v71
	v_fmamk_f32 v71, v70, 0x3f116cb1, v65
	v_fma_f32 v65, 0x3f116cb1, v70, -v65
	v_add_f32_e32 v63, v63, v64
	v_mul_f32_e32 v64, 0xbf6f5d39, v28
	v_mul_f32_e32 v28, 0x3f7e222b, v28
	v_or_b32_e32 v22, v66, v22
	v_add_f32_e32 v56, v65, v56
	v_add_f32_e32 v71, v71, v72
	v_fmamk_f32 v65, v70, 0xbeb58ec6, v64
	v_fmamk_f32 v66, v70, 0x3df6dbef, v28
	v_fma_f32 v28, 0x3df6dbef, v70, -v28
	v_fma_f32 v64, 0xbeb58ec6, v70, -v64
	v_lshl_add_u32 v22, v22, 2, 0
	s_delay_alu instid0(VALU_DEP_4) | instskip(NEXT) | instid1(VALU_DEP_4)
	v_dual_add_f32 v54, v65, v54 :: v_dual_add_f32 v59, v66, v59
	v_add_f32_e32 v25, v28, v25
	s_delay_alu instid0(VALU_DEP_4)
	v_add_f32_e32 v28, v64, v58
	ds_store_2addr_b32 v22, v1, v27 offset1:4
	ds_store_2addr_b32 v22, v55, v57 offset0:8 offset1:12
	ds_store_2addr_b32 v22, v71, v54 offset0:16 offset1:20
	;; [unrolled: 1-line block ×5, first 2 shown]
	ds_store_b32 v22, v29 offset:192
.LBB0_21:
	s_wait_alu 0xfffe
	s_or_b32 exec_lo, exec_lo, s1
	v_dual_mov_b32 v1, 0 :: v_dual_and_b32 v22, 0xff, v21
	global_wb scope:SCOPE_SE
	s_wait_dscnt 0x0
	s_barrier_signal -1
	s_barrier_wait -1
	v_lshlrev_b64_e32 v[28:29], 3, v[0:1]
	global_inv scope:SCOPE_SE
	v_and_b32_e32 v54, 0xffff, v15
	v_mul_lo_u16 v22, 0x4f, v22
	v_and_b32_e32 v72, 0xffff, v8
	v_add_co_u32 v28, s0, s4, v28
	s_wait_alu 0xf1ff
	v_add_co_ci_u32_e64 v29, s0, s5, v29, s0
	v_mul_u32_u24_e32 v79, 0x4ec5, v54
	v_lshrrev_b16 v22, 12, v22
	global_load_b64 v[56:57], v[28:29], off offset:400
	v_and_b32_e32 v27, 0xffff, v17
	v_and_b32_e32 v25, 0xff, v19
	v_lshrrev_b32_e32 v55, 20, v79
	v_mul_lo_u16 v22, v22, 52
	v_lshrrev_b32_e32 v79, 21, v79
	v_mul_u32_u24_e32 v61, 0x4ec5, v27
	v_and_b32_e32 v27, 0xffff, v4
	v_mul_lo_u16 v25, 0x4f, v25
	v_sub_nc_u16 v22, v21, v22
	v_mul_lo_u16 v79, 0x68, v79
	v_lshrrev_b32_e32 v54, 20, v61
	v_mul_u32_u24_e32 v120, 0x4ec5, v27
	v_lshrrev_b16 v25, 12, v25
	v_and_b32_e32 v124, 0xff, v22
	v_lshrrev_b32_e32 v61, 21, v61
	v_mul_lo_u16 v27, v54, 52
	v_mul_lo_u16 v54, v55, 52
	v_lshrrev_b32_e32 v55, 20, v120
	v_mul_lo_u16 v25, v25, 52
	v_lshrrev_b32_e32 v146, 21, v120
	v_sub_nc_u16 v27, v17, v27
	v_sub_nc_u16 v54, v15, v54
	v_mul_lo_u16 v55, v55, 52
	v_sub_nc_u16 v25, v19, v25
	v_mul_lo_u16 v61, 0x68, v61
	v_and_b32_e32 v126, 0xffff, v27
	v_and_b32_e32 v127, 0xffff, v54
	v_sub_nc_u16 v22, v4, v55
	v_and_b32_e32 v125, 0xff, v25
	v_lshlrev_b32_e32 v25, 3, v124
	v_lshlrev_b32_e32 v54, 3, v126
	;; [unrolled: 1-line block ×3, first 2 shown]
	v_and_b32_e32 v128, 0xffff, v22
	v_and_b32_e32 v22, 0xffff, v6
	v_lshlrev_b32_e32 v27, 3, v125
	s_clause 0x3
	global_load_b64 v[58:59], v25, s[4:5] offset:400
	global_load_b64 v[63:64], v27, s[4:5] offset:400
	;; [unrolled: 1-line block ×4, first 2 shown]
	v_mul_u32_u24_e32 v22, 0x4ec5, v22
	v_and_b32_e32 v27, 0xffff, v10
	v_mul_u32_u24_e32 v54, 0x4ec5, v72
	v_and_b32_e32 v55, 0xffff, v12
	v_and_b32_e32 v72, 0xffff, v14
	v_lshrrev_b32_e32 v73, 20, v22
	v_mul_u32_u24_e32 v27, 0x4ec5, v27
	v_lshrrev_b32_e32 v54, 20, v54
	v_mul_u32_u24_e32 v55, 0x4ec5, v55
	v_mul_u32_u24_e32 v72, 0x4ec5, v72
	v_mul_lo_u16 v73, v73, 52
	v_lshrrev_b32_e32 v27, 20, v27
	v_mul_lo_u16 v54, v54, 52
	v_lshrrev_b32_e32 v55, 20, v55
	v_lshrrev_b32_e32 v72, 20, v72
	v_sub_nc_u16 v73, v6, v73
	v_mul_lo_u16 v27, v27, 52
	v_sub_nc_u16 v54, v8, v54
	v_mul_lo_u16 v55, v55, 52
	v_mul_lo_u16 v72, v72, 52
	v_and_b32_e32 v129, 0xffff, v73
	v_sub_nc_u16 v27, v10, v27
	v_and_b32_e32 v130, 0xffff, v54
	v_sub_nc_u16 v54, v12, v55
	v_sub_nc_u16 v55, v14, v72
	v_lshlrev_b32_e32 v25, 3, v128
	v_lshlrev_b32_e32 v74, 3, v129
	v_and_b32_e32 v131, 0xffff, v27
	v_lshlrev_b32_e32 v27, 3, v130
	v_and_b32_e32 v132, 0xffff, v54
	v_and_b32_e32 v133, 0xffff, v55
	s_clause 0x2
	global_load_b64 v[72:73], v25, s[4:5] offset:400
	global_load_b64 v[74:75], v74, s[4:5] offset:400
	;; [unrolled: 1-line block ×3, first 2 shown]
	v_lshlrev_b32_e32 v25, 3, v131
	v_lshlrev_b32_e32 v54, 3, v132
	;; [unrolled: 1-line block ×3, first 2 shown]
	s_clause 0x2
	global_load_b64 v[102:103], v25, s[4:5] offset:400
	global_load_b64 v[104:105], v54, s[4:5] offset:400
	;; [unrolled: 1-line block ×3, first 2 shown]
	v_mov_b32_e32 v25, v1
	v_mov_b32_e32 v27, v1
	ds_load_2addr_b32 v[108:109], v51 offset0:112 offset1:164
	ds_load_b32 v134, v78
	ds_load_b32 v135, v100
	;; [unrolled: 1-line block ×3, first 2 shown]
	ds_load_2addr_b32 v[110:111], v52 offset0:88 offset1:140
	ds_load_2addr_b32 v[112:113], v53 offset0:64 offset1:116
	ds_load_2addr_b32 v[114:115], v53 offset0:168 offset1:220
	ds_load_2addr_b32 v[116:117], v5 offset0:16 offset1:68
	ds_load_b32 v137, v42
	ds_load_b32 v138, v43
	;; [unrolled: 1-line block ×8, first 2 shown]
	ds_load_2addr_b32 v[118:119], v5 offset0:120 offset1:172
	ds_load_b32 v145, v50
	global_wb scope:SCOPE_SE
	s_wait_loadcnt_dscnt 0x0
	s_barrier_signal -1
	v_lshlrev_b64_e32 v[24:25], 3, v[24:25]
	v_lshlrev_b64_e32 v[26:27], 3, v[26:27]
	s_barrier_wait -1
	global_inv scope:SCOPE_SE
	v_add_nc_u32_e32 v54, 0x600, v78
	v_add_co_u32 v120, s0, s4, v24
	s_wait_alu 0xf1ff
	v_add_co_ci_u32_e64 v121, s0, s5, v25, s0
	v_add_co_u32 v122, s0, s4, v26
	v_lshl_add_u32 v25, v125, 2, 0
	s_wait_alu 0xf1ff
	v_add_co_ci_u32_e64 v123, s0, s5, v27, s0
	v_lshl_add_u32 v26, v126, 2, 0
	v_lshl_add_u32 v27, v127, 2, 0
	;; [unrolled: 1-line block ×3, first 2 shown]
	v_add_nc_u32_e32 v130, 0x400, v25
	v_lshl_add_u32 v24, v124, 2, 0
	v_lshl_add_u32 v124, v128, 2, 0
	;; [unrolled: 1-line block ×4, first 2 shown]
	v_add_nc_u32_e32 v132, 0x800, v27
	v_add_nc_u32_e32 v126, 0xc00, v126
	;; [unrolled: 1-line block ×3, first 2 shown]
	v_dual_mul_f32 v25, v108, v57 :: v_dual_add_nc_u32 v124, 0x800, v124
	v_mul_f32_e32 v27, v109, v57
	s_delay_alu instid0(VALU_DEP_2) | instskip(NEXT) | instid1(VALU_DEP_2)
	v_fma_f32 v25, v40, v56, -v25
	v_fma_f32 v27, v41, v56, -v27
	s_delay_alu instid0(VALU_DEP_2) | instskip(SKIP_3) | instid1(VALU_DEP_2)
	v_sub_f32_e32 v25, v69, v25
	v_mul_f32_e32 v147, v116, v77
	v_dual_mul_f32 v77, v36, v77 :: v_dual_mul_f32 v148, v117, v103
	v_mul_f32_e32 v103, v37, v103
	v_dual_mul_f32 v150, v119, v107 :: v_dual_fmac_f32 v77, v116, v76
	v_mul_f32_e32 v107, v39, v107
	s_delay_alu instid0(VALU_DEP_3)
	v_fmac_f32_e32 v103, v117, v102
	v_dual_mul_f32 v26, v40, v57 :: v_dual_add_nc_u32 v131, 0x400, v26
	v_mul_f32_e32 v57, v41, v57
	v_add_nc_u32_e32 v41, 0x1000, v128
	v_mul_f32_e32 v128, v111, v64
	v_mul_f32_e32 v64, v33, v64
	v_fmac_f32_e32 v26, v108, v56
	v_fmac_f32_e32 v57, v109, v56
	v_mul_f32_e32 v109, v110, v59
	v_mul_f32_e32 v59, v32, v59
	v_fmac_f32_e32 v64, v111, v63
	v_sub_f32_e32 v56, v134, v26
	v_sub_f32_e32 v26, v68, v27
	v_fma_f32 v27, v69, 2.0, -v25
	v_sub_f32_e32 v57, v135, v57
	v_fmac_f32_e32 v59, v110, v58
	v_fma_f32 v69, v134, 2.0, -v56
	v_fma_f32 v40, v68, 2.0, -v26
	ds_store_2addr_b32 v78, v27, v25 offset1:52
	ds_store_2addr_b32 v78, v40, v26 offset0:104 offset1:156
	v_fma_f32 v26, v33, v63, -v128
	v_mul_f32_e32 v134, v114, v73
	v_fma_f32 v68, v135, 2.0, -v57
	v_mul_f32_e32 v135, v115, v75
	v_fma_f32 v25, v32, v58, -v109
	v_sub_f32_e32 v26, v62, v26
	v_lshl_add_u32 v125, v129, 2, 0
	v_lshl_add_u32 v129, v133, 2, 0
	v_mul_f32_e32 v133, v113, v71
	v_fma_f32 v33, v36, v76, -v147
	v_fma_f32 v36, v39, v106, -v150
	v_mul_f32_e32 v149, v118, v105
	v_dual_mul_f32 v129, v112, v66 :: v_dual_add_nc_u32 v108, 0x1000, v129
	v_dual_mul_f32 v66, v30, v66 :: v_dual_mul_f32 v71, v31, v71
	v_mul_f32_e32 v73, v34, v73
	v_mul_f32_e32 v75, v35, v75
	s_delay_alu instid0(VALU_DEP_4)
	v_fma_f32 v27, v30, v65, -v129
	v_fma_f32 v30, v31, v70, -v133
	;; [unrolled: 1-line block ×3, first 2 shown]
	v_mul_f32_e32 v105, v38, v105
	v_fma_f32 v32, v35, v74, -v135
	v_fma_f32 v34, v37, v102, -v148
	v_dual_sub_f32 v25, v67, v25 :: v_dual_sub_f32 v36, v9, v36
	v_fma_f32 v35, v38, v104, -v149
	v_dual_sub_f32 v27, v60, v27 :: v_dual_sub_f32 v30, v18, v30
	v_sub_f32_e32 v31, v11, v31
	v_dual_sub_f32 v34, v16, v34 :: v_dual_add_nc_u32 v125, 0xa00, v125
	v_dual_fmac_f32 v66, v112, v65 :: v_dual_fmac_f32 v105, v118, v104
	v_dual_sub_f32 v32, v7, v32 :: v_dual_sub_f32 v33, v20, v33
	v_sub_f32_e32 v35, v13, v35
	v_fma_f32 v39, v67, 2.0, -v25
	v_fma_f32 v40, v62, 2.0, -v26
	;; [unrolled: 1-line block ×5, first 2 shown]
	v_add_nc_u32_e32 v127, 0xc00, v127
	v_fmac_f32_e32 v71, v113, v70
	v_fmac_f32_e32 v73, v114, v72
	;; [unrolled: 1-line block ×4, first 2 shown]
	v_sub_f32_e32 v58, v138, v66
	v_sub_f32_e32 v66, v143, v103
	;; [unrolled: 1-line block ×3, first 2 shown]
	v_fma_f32 v7, v7, 2.0, -v32
	v_fma_f32 v20, v20, 2.0, -v33
	;; [unrolled: 1-line block ×5, first 2 shown]
	ds_store_2addr_b32 v24, v39, v25 offset0:80 offset1:132
	ds_store_2addr_b32 v130, v40, v26 offset0:56 offset1:108
	;; [unrolled: 1-line block ×10, first 2 shown]
	v_lshrrev_b32_e32 v18, 21, v22
	v_sub_nc_u16 v22, v15, v79
	v_dual_sub_f32 v37, v136, v59 :: v_dual_sub_f32 v38, v137, v64
	v_sub_f32_e32 v59, v139, v71
	v_sub_f32_e32 v63, v140, v73
	v_sub_f32_e32 v65, v142, v77
	v_sub_f32_e32 v71, v145, v107
	v_sub_nc_u16 v16, v17, v61
	v_mul_lo_u16 v20, 0x68, v146
	v_dual_mov_b32 v22, v1 :: v_dual_and_b32 v79, 0xffff, v22
	v_dual_sub_f32 v64, v141, v75 :: v_dual_add_nc_u32 v55, 0xe00, v78
	v_fma_f32 v67, v136, 2.0, -v37
	v_fma_f32 v62, v137, 2.0, -v38
	;; [unrolled: 1-line block ×10, first 2 shown]
	global_wb scope:SCOPE_SE
	s_wait_dscnt 0x0
	s_barrier_signal -1
	s_barrier_wait -1
	global_inv scope:SCOPE_SE
	ds_load_b32 v9, v78
	ds_load_2addr_b32 v[39:40], v53 offset0:12 offset1:64
	ds_load_2addr_b32 v[72:73], v54 offset0:84 offset1:136
	;; [unrolled: 1-line block ×7, first 2 shown]
	ds_load_b32 v27, v101
	ds_load_b32 v26, v42
	;; [unrolled: 1-line block ×8, first 2 shown]
	ds_load_b32 v129, v78 offset:4784
	global_wb scope:SCOPE_SE
	s_wait_dscnt 0x0
	s_barrier_signal -1
	s_barrier_wait -1
	global_inv scope:SCOPE_SE
	ds_store_2addr_b32 v78, v69, v56 offset1:52
	ds_store_2addr_b32 v78, v68, v57 offset0:104 offset1:156
	ds_store_2addr_b32 v24, v67, v37 offset0:80 offset1:132
	;; [unrolled: 1-line block ×11, first 2 shown]
	global_wb scope:SCOPE_SE
	s_wait_dscnt 0x0
	s_barrier_signal -1
	s_barrier_wait -1
	global_inv scope:SCOPE_SE
	s_clause 0x1
	global_load_b128 v[31:34], v[120:121], off offset:816
	global_load_b128 v[35:38], v[122:123], off offset:816
	v_and_b32_e32 v41, 0xffff, v16
	v_mul_lo_u16 v16, 0x68, v18
	v_sub_nc_u16 v18, v4, v20
	v_mov_b32_e32 v24, v1
	v_lshlrev_b64_e32 v[21:22], 3, v[21:22]
	v_lshlrev_b32_e32 v20, 4, v41
	v_sub_nc_u16 v16, v6, v16
	v_and_b32_e32 v112, 0xffff, v18
	v_lshlrev_b32_e32 v18, 4, v79
	v_lshlrev_b64_e32 v[23:24], 3, v[23:24]
	global_load_b128 v[56:59], v20, s[4:5] offset:816
	v_add_nc_u32_e32 v120, 0x400, v78
	v_lshl_add_u32 v122, v112, 2, 0
	global_load_b128 v[60:63], v18, s[4:5] offset:816
	v_and_b32_e32 v113, 0xffff, v16
	v_lshlrev_b32_e32 v16, 4, v112
	v_mov_b32_e32 v20, v1
	v_add_nc_u32_e32 v126, 0xe00, v122
	s_delay_alu instid0(VALU_DEP_4)
	v_lshlrev_b32_e32 v18, 4, v113
	s_clause 0x1
	global_load_b128 v[64:67], v16, s[4:5] offset:816
	global_load_b128 v[68:71], v18, s[4:5] offset:816
	v_mov_b32_e32 v16, v1
	v_mov_b32_e32 v18, v1
	v_lshlrev_b64_e32 v[19:20], 3, v[19:20]
	v_lshl_add_u32 v123, v113, 2, 0
	s_delay_alu instid0(VALU_DEP_4)
	v_lshlrev_b64_e32 v[110:111], 3, v[15:16]
	v_add_co_u32 v15, s0, s4, v23
	s_wait_alu 0xf1ff
	v_add_co_ci_u32_e64 v16, s0, s5, v24, s0
	v_lshlrev_b64_e32 v[108:109], 3, v[17:18]
	v_add_co_u32 v17, s0, s4, v21
	s_wait_alu 0xf1ff
	v_add_co_ci_u32_e64 v18, s0, s5, v22, s0
	v_add_co_u32 v19, s0, s4, v19
	s_wait_alu 0xf1ff
	v_add_co_ci_u32_e64 v20, s0, s5, v20, s0
	;; [unrolled: 3-line block ×3, first 2 shown]
	ds_load_b32 v130, v78
	ds_load_b32 v131, v47
	ds_load_2addr_b32 v[21:22], v53 offset0:12 offset1:64
	ds_load_2addr_b32 v[108:109], v54 offset0:84 offset1:136
	ds_load_2addr_b32 v[112:113], v53 offset0:116 offset1:168
	ds_load_2addr_b32 v[114:115], v51 offset0:60 offset1:112
	ds_load_2addr_b32 v[54:55], v55 offset0:92 offset1:144
	ds_load_2addr_b32 v[116:117], v51 offset0:164 offset1:216
	ds_load_2addr_b32 v[118:119], v5 offset0:68 offset1:120
	ds_load_b32 v132, v101
	ds_load_b32 v133, v42
	;; [unrolled: 1-line block ×7, first 2 shown]
	ds_load_b32 v139, v78 offset:4784
	v_add_nc_u32_e32 v121, 0x400, v100
	v_add_nc_u32_e32 v127, 0xe00, v123
	global_wb scope:SCOPE_SE
	s_wait_loadcnt_dscnt 0x0
	s_barrier_signal -1
	s_barrier_wait -1
	global_inv scope:SCOPE_SE
	v_mul_f32_e32 v140, v131, v32
	v_dual_mul_f32 v142, v22, v34 :: v_dual_mul_f32 v141, v128, v32
	v_mul_f32_e32 v143, v40, v34
	v_mul_f32_e32 v144, v108, v36
	v_mul_f32_e32 v145, v72, v36
	v_mul_f32_e32 v146, v112, v38
	v_mul_f32_e32 v150, v114, v36
	v_mul_f32_e32 v36, v76, v36
	v_fma_f32 v128, v128, v31, -v140
	v_mul_f32_e32 v147, v74, v38
	v_fma_f32 v40, v40, v33, -v142
	v_mul_f32_e32 v151, v54, v38
	v_mul_f32_e32 v38, v102, v38
	v_lshl_add_u32 v79, v79, 2, 0
	v_mul_f32_e32 v148, v109, v32
	v_mul_f32_e32 v32, v73, v32
	s_delay_alu instid0(VALU_DEP_4)
	v_dual_mul_f32 v149, v113, v34 :: v_dual_fmac_f32 v38, v54, v37
	v_mul_f32_e32 v34, v75, v34
	v_fmac_f32_e32 v36, v114, v35
	v_dual_mul_f32 v152, v115, v57 :: v_dual_add_nc_u32 v125, 0x800, v79
	v_mul_f32_e32 v57, v77, v57
	v_mul_f32_e32 v154, v116, v61
	;; [unrolled: 1-line block ×3, first 2 shown]
	v_fmac_f32_e32 v147, v112, v37
	v_fma_f32 v73, v73, v31, -v148
	v_fmac_f32_e32 v32, v109, v31
	v_fmac_f32_e32 v141, v131, v31
	v_fma_f32 v31, v75, v33, -v149
	v_fmac_f32_e32 v34, v113, v33
	v_fmac_f32_e32 v143, v22, v33
	v_fma_f32 v22, v72, v35, -v144
	v_fma_f32 v72, v74, v37, -v146
	v_mul_f32_e32 v65, v105, v65
	v_fma_f32 v33, v76, v35, -v150
	v_mul_f32_e32 v159, v139, v71
	v_dual_mul_f32 v71, v129, v71 :: v_dual_sub_f32 v112, v36, v38
	v_dual_add_f32 v113, v133, v36 :: v_dual_add_f32 v36, v36, v38
	v_mul_f32_e32 v153, v55, v59
	v_dual_mul_f32 v59, v103, v59 :: v_dual_add_f32 v76, v22, v72
	v_mul_f32_e32 v61, v104, v61
	v_dual_sub_f32 v74, v128, v40 :: v_dual_add_f32 v75, v30, v22
	v_sub_f32_e32 v22, v22, v72
	s_delay_alu instid0(VALU_DEP_4) | instskip(NEXT) | instid1(VALU_DEP_4)
	v_fmac_f32_e32 v30, -0.5, v76
	v_fmac_f32_e32 v61, v116, v60
	v_fmac_f32_e32 v57, v115, v56
	;; [unrolled: 1-line block ×3, first 2 shown]
	v_dual_fmac_f32 v59, v55, v58 :: v_dual_mul_f32 v158, v21, v69
	v_fmac_f32_e32 v145, v108, v35
	v_mul_f32_e32 v155, v118, v63
	v_mul_f32_e32 v63, v106, v63
	s_delay_alu instid0(VALU_DEP_4) | instskip(SKIP_3) | instid1(VALU_DEP_4)
	v_dual_sub_f32 v116, v57, v59 :: v_dual_mul_f32 v69, v39, v69
	v_fma_f32 v39, v39, v68, -v158
	v_fma_f32 v55, v104, v60, -v154
	v_add_f32_e32 v104, v27, v73
	v_dual_add_f32 v108, v26, v33 :: v_dual_fmac_f32 v69, v21, v68
	v_add_f32_e32 v68, v130, v141
	v_fma_f32 v54, v103, v58, -v153
	v_fma_f32 v58, v105, v64, -v156
	v_add_f32_e32 v64, v128, v40
	v_fma_f32 v35, v102, v37, -v151
	v_fma_f32 v37, v77, v56, -v152
	;; [unrolled: 1-line block ×4, first 2 shown]
	v_dual_fmac_f32 v71, v139, v70 :: v_dual_add_f32 v70, v141, v143
	s_delay_alu instid0(VALU_DEP_4) | instskip(SKIP_3) | instid1(VALU_DEP_3)
	v_add_f32_e32 v114, v11, v37
	v_dual_mul_f32 v157, v119, v67 :: v_dual_add_f32 v102, v138, v145
	v_dual_mul_f32 v67, v107, v67 :: v_dual_sub_f32 v106, v32, v34
	v_dual_fmac_f32 v63, v118, v62 :: v_dual_add_f32 v144, v39, v21
	v_fma_f32 v60, v107, v66, -v157
	v_add_f32_e32 v62, v9, v128
	v_add_f32_e32 v118, v7, v55
	;; [unrolled: 1-line block ×5, first 2 shown]
	v_fmac_f32_e32 v67, v119, v66
	v_dual_sub_f32 v77, v145, v147 :: v_dual_add_f32 v40, v62, v40
	v_add_f32_e32 v131, v25, v58
	v_add_f32_e32 v142, v13, v39
	v_dual_sub_f32 v128, v61, v63 :: v_dual_fmac_f32 v9, -0.5, v64
	v_add_f32_e32 v62, v68, v143
	v_dual_fmac_f32 v130, -0.5, v70 :: v_dual_add_f32 v139, v58, v60
	v_sub_f32_e32 v58, v58, v60
	v_sub_f32_e32 v140, v65, v67
	v_add_f32_e32 v64, v75, v72
	v_dual_fmac_f32 v138, -0.5, v103 :: v_dual_add_f32 v117, v134, v57
	v_add_f32_e32 v38, v113, v38
	v_add_f32_e32 v57, v57, v59
	;; [unrolled: 1-line block ×6, first 2 shown]
	v_dual_add_f32 v105, v73, v31 :: v_dual_add_f32 v70, v107, v34
	v_fmac_f32_e32 v133, -0.5, v36
	v_dual_add_f32 v36, v131, v60 :: v_dual_sub_f32 v37, v37, v54
	v_fmac_f32_e32 v134, -0.5, v57
	v_sub_f32_e32 v66, v141, v143
	v_dual_sub_f32 v73, v73, v31 :: v_dual_fmac_f32 v132, -0.5, v32
	v_add_f32_e32 v119, v55, v56
	v_add_f32_e32 v141, v136, v65
	v_sub_f32_e32 v145, v69, v71
	v_fmac_f32_e32 v27, -0.5, v105
	v_dual_add_f32 v65, v65, v67 :: v_dual_add_f32 v34, v114, v54
	v_dual_sub_f32 v33, v33, v35 :: v_dual_fmac_f32 v26, -0.5, v109
	v_add_f32_e32 v69, v69, v71
	v_add_f32_e32 v54, v117, v59
	v_add_f32_e32 v59, v146, v71
	v_fmamk_f32 v71, v37, 0xbf5db3d7, v134
	v_fmac_f32_e32 v134, 0x3f5db3d7, v37
	v_dual_add_f32 v129, v135, v61 :: v_dual_fmamk_f32 v60, v66, 0x3f5db3d7, v9
	v_dual_add_f32 v61, v61, v63 :: v_dual_fmac_f32 v136, -0.5, v65
	v_dual_sub_f32 v55, v55, v56 :: v_dual_add_f32 v32, v108, v35
	v_fmac_f32_e32 v11, -0.5, v115
	v_fmac_f32_e32 v7, -0.5, v119
	s_delay_alu instid0(VALU_DEP_4)
	v_fmac_f32_e32 v135, -0.5, v61
	v_fmac_f32_e32 v13, -0.5, v144
	v_fmamk_f32 v61, v74, 0xbf5db3d7, v130
	v_dual_fmac_f32 v130, 0x3f5db3d7, v74 :: v_dual_fmac_f32 v25, -0.5, v139
	v_lshl_add_u32 v41, v41, 2, 0
	v_sub_f32_e32 v39, v39, v21
	v_fmac_f32_e32 v9, 0xbf5db3d7, v66
	v_fmamk_f32 v65, v22, 0xbf5db3d7, v138
	v_fmac_f32_e32 v138, 0x3f5db3d7, v22
	v_fmamk_f32 v66, v73, 0xbf5db3d7, v132
	v_add_f32_e32 v57, v141, v67
	v_fmamk_f32 v67, v112, 0x3f5db3d7, v26
	v_dual_fmac_f32 v26, 0xbf5db3d7, v112 :: v_dual_fmac_f32 v137, -0.5, v69
	v_dual_fmac_f32 v132, 0x3f5db3d7, v73 :: v_dual_add_f32 v35, v118, v56
	v_add_f32_e32 v56, v129, v63
	v_fmamk_f32 v63, v77, 0x3f5db3d7, v30
	v_dual_fmac_f32 v30, 0xbf5db3d7, v77 :: v_dual_add_f32 v31, v104, v31
	v_dual_fmamk_f32 v72, v55, 0xbf5db3d7, v135 :: v_dual_add_f32 v21, v142, v21
	v_fmamk_f32 v69, v33, 0xbf5db3d7, v133
	v_fmac_f32_e32 v133, 0x3f5db3d7, v33
	v_fmamk_f32 v33, v116, 0x3f5db3d7, v11
	v_fmac_f32_e32 v11, 0xbf5db3d7, v116
	;; [unrolled: 2-line block ×3, first 2 shown]
	v_fmac_f32_e32 v135, 0x3f5db3d7, v55
	v_fmamk_f32 v55, v140, 0x3f5db3d7, v25
	v_fmac_f32_e32 v25, 0xbf5db3d7, v140
	v_fmamk_f32 v73, v58, 0xbf5db3d7, v136
	;; [unrolled: 2-line block ×4, first 2 shown]
	v_fmac_f32_e32 v13, 0xbf5db3d7, v145
	v_add_nc_u32_e32 v124, 0x800, v41
	v_fmamk_f32 v74, v39, 0xbf5db3d7, v137
	v_fmac_f32_e32 v137, 0x3f5db3d7, v39
	ds_store_2addr_b32 v78, v40, v60 offset1:104
	ds_store_b32 v78, v9 offset:832
	ds_store_2addr_b32 v100, v64, v63 offset1:104
	ds_store_b32 v100, v30 offset:832
	ds_store_2addr_b32 v120, v31, v22 offset0:56 offset1:160
	ds_store_b32 v78, v27 offset:2080
	ds_store_2addr_b32 v121, v32, v67 offset0:56 offset1:160
	;; [unrolled: 2-line block ×3, first 2 shown]
	ds_store_2addr_b32 v125, v35, v37 offset0:112 offset1:216
	ds_store_2addr_b32 v126, v36, v55 offset0:40 offset1:144
	ds_store_b32 v41, v11 offset:3328
	ds_store_b32 v122, v25 offset:4576
	ds_store_2addr_b32 v127, v21, v58 offset0:40 offset1:144
	ds_store_b32 v79, v7 offset:3328
	ds_store_b32 v123, v13 offset:4576
	global_wb scope:SCOPE_SE
	s_wait_dscnt 0x0
	s_barrier_signal -1
	s_barrier_wait -1
	global_inv scope:SCOPE_SE
	ds_load_2addr_b32 v[21:22], v51 offset0:112 offset1:164
	ds_load_2addr_b32 v[25:26], v52 offset0:88 offset1:140
	;; [unrolled: 1-line block ×4, first 2 shown]
	ds_load_b32 v7, v78
	ds_load_b32 v9, v100
	;; [unrolled: 1-line block ×8, first 2 shown]
	ds_load_2addr_b32 v[34:35], v5 offset0:16 offset1:68
	ds_load_2addr_b32 v[36:37], v5 offset0:120 offset1:172
	ds_load_b32 v103, v47
	ds_load_b32 v104, v48
	;; [unrolled: 1-line block ×4, first 2 shown]
	global_wb scope:SCOPE_SE
	s_wait_dscnt 0x0
	s_barrier_signal -1
	s_barrier_wait -1
	global_inv scope:SCOPE_SE
	ds_store_2addr_b32 v78, v62, v61 offset1:104
	ds_store_b32 v78, v130 offset:832
	ds_store_2addr_b32 v100, v68, v65 offset1:104
	ds_store_b32 v100, v138 offset:832
	ds_store_2addr_b32 v120, v70, v66 offset0:56 offset1:160
	ds_store_b32 v78, v132 offset:2080
	ds_store_2addr_b32 v121, v38, v69 offset0:56 offset1:160
	;; [unrolled: 2-line block ×3, first 2 shown]
	ds_store_2addr_b32 v125, v56, v72 offset0:112 offset1:216
	ds_store_2addr_b32 v126, v57, v73 offset0:40 offset1:144
	ds_store_b32 v41, v134 offset:3328
	ds_store_b32 v122, v136 offset:4576
	ds_store_2addr_b32 v127, v59, v74 offset0:40 offset1:144
	ds_store_b32 v79, v135 offset:3328
	ds_store_b32 v123, v137 offset:4576
	v_add_co_u32 v38, s0, s4, v110
	s_wait_alu 0xf1ff
	v_add_co_ci_u32_e64 v39, s0, s5, v111, s0
	global_wb scope:SCOPE_SE
	s_wait_dscnt 0x0
	s_barrier_signal -1
	s_barrier_wait -1
	global_inv scope:SCOPE_SE
	s_clause 0x5
	global_load_b64 v[40:41], v[28:29], off offset:2480
	global_load_b64 v[54:55], v[15:16], off offset:2480
	;; [unrolled: 1-line block ×6, first 2 shown]
	ds_load_2addr_b32 v[64:65], v51 offset0:112 offset1:164
	ds_load_b32 v79, v78
	ds_load_b32 v107, v100
	ds_load_b32 v108, v101
	ds_load_2addr_b32 v[66:67], v52 offset0:88 offset1:140
	ds_load_2addr_b32 v[68:69], v53 offset0:64 offset1:116
	;; [unrolled: 1-line block ×4, first 2 shown]
	ds_load_b32 v109, v42
	ds_load_b32 v110, v43
	ds_load_b32 v111, v44
	ds_load_b32 v112, v45
	ds_load_b32 v113, v46
	ds_load_b32 v114, v47
	ds_load_b32 v115, v48
	ds_load_b32 v116, v49
	ds_load_2addr_b32 v[74:75], v5 offset0:120 offset1:172
	ds_load_b32 v117, v50
	global_wb scope:SCOPE_SE
	s_wait_loadcnt_dscnt 0x0
	s_barrier_signal -1
	s_barrier_wait -1
	global_inv scope:SCOPE_SE
	v_mul_f32_e32 v118, v64, v41
	v_mul_f32_e32 v120, v65, v55
	;; [unrolled: 1-line block ×5, first 2 shown]
	v_dual_mul_f32 v130, v70, v41 :: v_dual_mul_f32 v131, v71, v55
	v_dual_mul_f32 v132, v72, v57 :: v_dual_mul_f32 v133, v73, v59
	;; [unrolled: 1-line block ×4, first 2 shown]
	v_fma_f32 v21, v21, v40, -v118
	v_mul_f32_e32 v121, v22, v55
	v_fma_f32 v22, v22, v54, -v120
	v_mul_f32_e32 v123, v25, v57
	v_mul_f32_e32 v125, v26, v59
	;; [unrolled: 1-line block ×10, first 2 shown]
	v_fma_f32 v25, v25, v56, -v122
	v_fma_f32 v30, v30, v60, -v126
	;; [unrolled: 1-line block ×10, first 2 shown]
	v_dual_sub_f32 v21, v7, v21 :: v_dual_sub_f32 v22, v9, v22
	v_fmac_f32_e32 v41, v70, v40
	v_fmac_f32_e32 v55, v71, v54
	;; [unrolled: 1-line block ×3, first 2 shown]
	v_sub_f32_e32 v25, v11, v25
	v_dual_sub_f32 v30, v27, v30 :: v_dual_sub_f32 v31, v76, v31
	v_dual_sub_f32 v32, v77, v32 :: v_dual_sub_f32 v33, v102, v33
	;; [unrolled: 1-line block ×4, first 2 shown]
	v_fmac_f32_e32 v59, v73, v58
	v_sub_f32_e32 v26, v13, v26
	v_fma_f32 v7, v7, 2.0, -v21
	v_fma_f32 v9, v9, 2.0, -v22
	v_fmac_f32_e32 v119, v64, v40
	v_fmac_f32_e32 v121, v65, v54
	;; [unrolled: 1-line block ×5, first 2 shown]
	v_dual_fmac_f32 v129, v69, v62 :: v_dual_sub_f32 v68, v112, v41
	v_dual_sub_f32 v69, v113, v55 :: v_dual_sub_f32 v70, v114, v57
	s_delay_alu instid0(VALU_DEP_3)
	v_sub_f32_e32 v66, v110, v127
	v_fma_f32 v11, v11, 2.0, -v25
	v_fma_f32 v27, v27, 2.0, -v30
	;; [unrolled: 1-line block ×9, first 2 shown]
	v_sub_f32_e32 v71, v115, v59
	v_fma_f32 v13, v13, 2.0, -v26
	ds_store_b32 v78, v7
	ds_store_b32 v78, v21 offset:1248
	ds_store_b32 v100, v9
	ds_store_b32 v100, v22 offset:1248
	;; [unrolled: 2-line block ×6, first 2 shown]
	ds_store_b32 v78, v41 offset:2496
	ds_store_b32 v78, v32 offset:3744
	;; [unrolled: 1-line block ×12, first 2 shown]
	global_wb scope:SCOPE_SE
	s_wait_dscnt 0x0
	s_barrier_signal -1
	s_barrier_wait -1
	global_inv scope:SCOPE_SE
	ds_load_2addr_b32 v[32:33], v51 offset0:112 offset1:164
	ds_load_2addr_b32 v[34:35], v52 offset0:88 offset1:140
	;; [unrolled: 1-line block ×4, first 2 shown]
	ds_load_b32 v54, v78
	ds_load_b32 v55, v100
	;; [unrolled: 1-line block ×8, first 2 shown]
	ds_load_2addr_b32 v[25:26], v5 offset0:16 offset1:68
	ds_load_2addr_b32 v[30:31], v5 offset0:120 offset1:172
	ds_load_b32 v41, v47
	ds_load_b32 v51, v48
	;; [unrolled: 1-line block ×4, first 2 shown]
	v_fmac_f32_e32 v61, v74, v60
	v_fmac_f32_e32 v63, v75, v62
	v_sub_f32_e32 v60, v79, v119
	v_sub_f32_e32 v62, v107, v121
	v_dual_sub_f32 v64, v108, v123 :: v_dual_sub_f32 v65, v109, v125
	v_sub_f32_e32 v67, v111, v129
	v_sub_f32_e32 v61, v116, v61
	;; [unrolled: 1-line block ×3, first 2 shown]
	v_fma_f32 v72, v79, 2.0, -v60
	v_fma_f32 v73, v107, 2.0, -v62
	;; [unrolled: 1-line block ×12, first 2 shown]
	global_wb scope:SCOPE_SE
	s_wait_dscnt 0x0
	s_barrier_signal -1
	s_barrier_wait -1
	global_inv scope:SCOPE_SE
	ds_store_b32 v78, v72
	ds_store_b32 v78, v60 offset:1248
	ds_store_b32 v100, v73
	ds_store_b32 v100, v62 offset:1248
	;; [unrolled: 2-line block ×6, first 2 shown]
	ds_store_b32 v78, v77 offset:2496
	ds_store_b32 v78, v68 offset:3744
	;; [unrolled: 1-line block ×12, first 2 shown]
	global_wb scope:SCOPE_SE
	s_wait_dscnt 0x0
	s_barrier_signal -1
	s_barrier_wait -1
	global_inv scope:SCOPE_SE
	s_and_saveexec_b32 s0, vcc_lo
	s_cbranch_execz .LBB0_23
; %bb.22:
	s_clause 0x5
	global_load_b64 v[38:39], v[38:39], off offset:4976
	global_load_b64 v[23:24], v[23:24], off offset:4976
	;; [unrolled: 1-line block ×6, first 2 shown]
	v_dual_mov_b32 v15, v1 :: v_dual_add_nc_u32 v16, 0x1000, v78
	v_mov_b32_e32 v13, v1
	v_dual_mov_b32 v11, v1 :: v_dual_add_nc_u32 v116, 0xa00, v78
	s_delay_alu instid0(VALU_DEP_3) | instskip(SKIP_1) | instid1(VALU_DEP_4)
	v_lshlrev_b64_e32 v[14:15], 3, v[14:15]
	v_dual_mov_b32 v9, v1 :: v_dual_add_nc_u32 v118, 0x800, v78
	v_lshlrev_b64_e32 v[12:13], 3, v[12:13]
	s_delay_alu instid0(VALU_DEP_4)
	v_lshlrev_b64_e32 v[10:11], 3, v[10:11]
	v_mov_b32_e32 v7, v1
	v_add_co_u32 v14, vcc_lo, s4, v14
	s_wait_alu 0xfffd
	v_add_co_ci_u32_e32 v15, vcc_lo, s5, v15, vcc_lo
	v_lshlrev_b64_e32 v[8:9], 3, v[8:9]
	v_add_co_u32 v12, vcc_lo, s4, v12
	v_mad_co_u64_u32 v[66:67], null, s8, v88, 0
	v_mov_b32_e32 v5, v1
	s_wait_alu 0xfffd
	v_add_co_ci_u32_e32 v13, vcc_lo, s5, v13, vcc_lo
	v_lshlrev_b64_e32 v[6:7], 3, v[6:7]
	v_add_co_u32 v10, vcc_lo, s4, v10
	s_wait_alu 0xfffd
	v_add_co_ci_u32_e32 v11, vcc_lo, s5, v11, vcc_lo
	v_lshlrev_b64_e32 v[4:5], 3, v[4:5]
	v_add_co_u32 v8, vcc_lo, s4, v8
	s_wait_alu 0xfffd
	v_add_co_ci_u32_e32 v9, vcc_lo, s5, v9, vcc_lo
	v_add_co_u32 v6, vcc_lo, s4, v6
	s_wait_alu 0xfffd
	v_add_co_ci_u32_e32 v7, vcc_lo, s5, v7, vcc_lo
	;; [unrolled: 3-line block ×3, first 2 shown]
	s_clause 0x5
	global_load_b64 v[14:15], v[14:15], off offset:4976
	global_load_b64 v[12:13], v[12:13], off offset:4976
	;; [unrolled: 1-line block ×6, first 2 shown]
	ds_load_b32 v129, v50
	v_add_nc_u32_e32 v50, 0xc00, v78
	ds_load_b32 v130, v49
	ds_load_b32 v131, v48
	;; [unrolled: 1-line block ×11, first 2 shown]
	ds_load_2addr_b32 v[108:109], v16 offset0:120 offset1:172
	ds_load_2addr_b32 v[110:111], v16 offset0:16 offset1:68
	;; [unrolled: 1-line block ×6, first 2 shown]
	v_mov_b32_e32 v50, v67
	v_mad_co_u64_u32 v[42:43], null, s8, v0, 0
	v_add_co_u32 v1, vcc_lo, s10, v2
	v_mad_co_u64_u32 v[44:45], null, s8, v99, 0
	s_wait_alu 0xfffd
	v_add_co_ci_u32_e32 v2, vcc_lo, s11, v3, vcc_lo
	v_mad_co_u64_u32 v[46:47], null, s8, v91, 0
	v_lshrrev_b32_e32 v3, 4, v82
	v_mad_co_u64_u32 v[48:49], null, s8, v98, 0
	v_mad_co_u64_u32 v[64:65], null, s8, v97, 0
	v_mad_co_u64_u32 v[62:63], null, s8, v90, 0
	v_mad_co_u64_u32 v[68:69], null, s8, v96, 0
	v_mul_hi_u32 v141, 0x1a41a41b, v3
	v_mov_b32_e32 v3, v43
	v_mad_co_u64_u32 v[72:73], null, s8, v95, 0
	v_mad_co_u64_u32 v[78:79], null, s8, v89, 0
	;; [unrolled: 1-line block ×3, first 2 shown]
	v_dual_mov_b32 v16, v45 :: v_dual_mov_b32 v43, v47
	v_mov_b32_e32 v45, v49
	v_mov_b32_e32 v49, v65
	v_mad_co_u64_u32 v[70:71], null, s8, v86, 0
	v_mad_co_u64_u32 v[74:75], null, s8, v85, 0
	v_mov_b32_e32 v47, v63
	v_mov_b32_e32 v63, v69
	v_mad_co_u64_u32 v[76:77], null, s8, v94, 0
	v_mad_co_u64_u32 v[100:101], null, s8, v93, 0
	v_mov_b32_e32 v65, v71
	v_mad_co_u64_u32 v[102:103], null, s8, v87, 0
	v_mad_co_u64_u32 v[106:107], null, s8, v83, 0
	s_wait_loadcnt 0x0
	v_mad_co_u64_u32 v[120:121], null, s9, v0, v[3:4]
	s_wait_dscnt 0x2
	v_mul_f32_e32 v3, v39, v115
	v_mad_co_u64_u32 v[121:122], null, s9, v99, v[16:17]
	v_mul_f32_e32 v16, v24, v114
	v_mad_co_u64_u32 v[122:123], null, s9, v91, v[43:44]
	v_mad_co_u64_u32 v[123:124], null, s9, v97, v[49:50]
	;; [unrolled: 1-line block ×3, first 2 shown]
	v_dual_mul_f32 v50, v23, v114 :: v_dual_mov_b32 v67, v73
	v_mov_b32_e32 v73, v79
	v_fma_f32 v3, v37, v38, -v3
	v_mov_b32_e32 v79, v105
	v_mad_co_u64_u32 v[96:97], null, s9, v96, v[63:64]
	v_mad_co_u64_u32 v[90:91], null, s9, v90, v[47:48]
	v_dual_mul_f32 v0, v38, v115 :: v_dual_mov_b32 v69, v75
	v_fma_f32 v23, v36, v23, -v16
	v_sub_f32_e32 v16, v59, v3
	v_mad_co_u64_u32 v[91:92], null, s9, v92, v[79:80]
	s_delay_alu instid0(VALU_DEP_4)
	v_fmac_f32_e32 v0, v37, v39
	s_wait_dscnt 0x1
	v_mul_f32_e32 v92, v17, v116
	v_mov_b32_e32 v71, v77
	v_mad_co_u64_u32 v[125:126], null, s9, v86, v[65:66]
	v_mad_co_u64_u32 v[85:86], null, s9, v85, v[69:70]
	s_delay_alu instid0(VALU_DEP_4) | instskip(SKIP_4) | instid1(VALU_DEP_3)
	v_dual_fmac_f32 v92, v34, v18 :: v_dual_mov_b32 v69, v96
	s_wait_dscnt 0x0
	v_dual_mul_f32 v96, v28, v118 :: v_dual_mov_b32 v75, v101
	v_fmac_f32_e32 v50, v36, v24
	v_mad_co_u64_u32 v[126:127], null, s9, v95, v[67:68]
	v_fmac_f32_e32 v96, v32, v29
	v_mad_co_u64_u32 v[94:95], null, s9, v94, v[71:72]
	v_mov_b32_e32 v77, v103
	v_mad_co_u64_u32 v[127:128], null, s9, v93, v[75:76]
	v_mul_f32_e32 v93, v18, v116
	v_dual_mov_b32 v67, v124 :: v_dual_sub_f32 v18, v58, v23
	s_delay_alu instid0(VALU_DEP_4) | instskip(NEXT) | instid1(VALU_DEP_3)
	v_mad_co_u64_u32 v[86:87], null, s9, v87, v[77:78]
	v_fma_f32 v34, v34, v17, -v93
	v_dual_sub_f32 v17, v135, v0 :: v_dual_mul_f32 v0, v14, v109
	v_dual_mov_b32 v77, v94 :: v_dual_mul_f32 v94, v60, v119
	v_dual_mov_b32 v63, v90 :: v_dual_mul_f32 v90, v20, v117
	v_mad_co_u64_u32 v[98:99], null, s9, v98, v[45:46]
	s_delay_alu instid0(VALU_DEP_3)
	v_fmac_f32_e32 v94, v33, v61
	v_mad_co_u64_u32 v[88:89], null, s9, v89, v[73:74]
	v_mul_f32_e32 v89, v19, v117
	v_mul_f32_e32 v97, v29, v118
	v_mov_b32_e32 v73, v126
	v_mov_b32_e32 v49, v98
	;; [unrolled: 1-line block ×3, first 2 shown]
	v_fmac_f32_e32 v89, v35, v20
	v_fma_f32 v20, v35, v19, -v90
	v_fma_f32 v36, v32, v28, -v97
	v_dual_fmac_f32 v0, v31, v15 :: v_dual_sub_f32 v19, v136, v50
	v_mul_f32_e32 v50, v13, v108
	s_delay_alu instid0(VALU_DEP_4)
	v_sub_f32_e32 v23, v57, v20
	v_mul_f32_e32 v20, v12, v108
	v_mov_b32_e32 v79, v88
	v_mul_f32_e32 v97, v5, v112
	v_fma_f32 v12, v30, v12, -v50
	v_dual_mov_b32 v45, v121 :: v_dual_sub_f32 v28, v56, v34
	v_dual_fmac_f32 v20, v30, v13 :: v_dual_mul_f32 v95, v61, v119
	v_lshlrev_b64_e32 v[48:49], 3, v[48:49]
	s_delay_alu instid0(VALU_DEP_3) | instskip(SKIP_1) | instid1(VALU_DEP_4)
	v_lshlrev_b64_e32 v[44:45], 3, v[44:45]
	v_dual_mov_b32 v65, v123 :: v_dual_sub_f32 v34, v54, v36
	v_fma_f32 v35, v33, v60, -v95
	v_mov_b32_e32 v47, v122
	v_lshlrev_b64_e32 v[62:63], 3, v[62:63]
	s_delay_alu instid0(VALU_DEP_4)
	v_lshlrev_b64_e32 v[64:65], 3, v[64:65]
	v_lshlrev_b64_e32 v[66:67], 3, v[66:67]
	v_dual_sub_f32 v32, v55, v35 :: v_dual_sub_f32 v35, v140, v96
	v_mul_f32_e32 v96, v4, v112
	v_lshlrev_b64_e32 v[46:47], 3, v[46:47]
	v_mov_b32_e32 v71, v125
	v_dual_sub_f32 v29, v138, v92 :: v_dual_mul_f32 v92, v8, v110
	s_delay_alu instid0(VALU_DEP_4) | instskip(SKIP_1) | instid1(VALU_DEP_4)
	v_dual_fmac_f32 v96, v21, v5 :: v_dual_sub_f32 v33, v139, v94
	v_dual_mul_f32 v94, v6, v113 :: v_dual_sub_f32 v5, v52, v12
	v_lshlrev_b64_e32 v[70:71], 3, v[70:71]
	v_lshlrev_b64_e32 v[72:73], 3, v[72:73]
	;; [unrolled: 1-line block ×3, first 2 shown]
	s_delay_alu instid0(VALU_DEP_4)
	v_fmac_f32_e32 v94, v22, v7
	v_fma_f32 v13, v21, v4, -v97
	v_lshlrev_b64_e32 v[76:77], 3, v[76:77]
	v_mul_f32_e32 v3, v15, v109
	v_fma_f32 v90, v140, 2.0, -v35
	v_dual_sub_f32 v12, v133, v94 :: v_dual_mov_b32 v43, v120
	v_sub_f32_e32 v24, v137, v89
	v_fma_f32 v89, v54, 2.0, -v34
	v_mul_f32_e32 v54, v10, v111
	v_lshlrev_b64_e32 v[68:69], 3, v[68:69]
	v_lshlrev_b64_e32 v[42:43], 3, v[42:43]
	v_mov_b32_e32 v101, v127
	v_mul_f32_e32 v93, v9, v110
	v_dual_mul_f32 v95, v7, v113 :: v_dual_sub_f32 v4, v129, v0
	v_sub_f32_e32 v13, v27, v13
	v_add_co_u32 v42, vcc_lo, v1, v42
	s_wait_alu 0xfffd
	v_add_co_ci_u32_e32 v43, vcc_lo, v2, v43, vcc_lo
	v_add_co_u32 v44, vcc_lo, v1, v44
	s_wait_alu 0xfffd
	v_add_co_ci_u32_e32 v45, vcc_lo, v2, v45, vcc_lo
	;; [unrolled: 3-line block ×10, first 2 shown]
	v_add_co_u32 v74, vcc_lo, v1, v74
	v_mov_b32_e32 v0, v107
	v_lshlrev_b64_e32 v[78:79], 3, v[78:79]
	v_dual_mov_b32 v103, v86 :: v_dual_fmac_f32 v92, v25, v9
	s_wait_alu 0xfffd
	v_add_co_ci_u32_e32 v75, vcc_lo, v2, v75, vcc_lo
	v_fma_f32 v36, v59, 2.0, -v16
	v_fma_f32 v59, v56, 2.0, -v28
	;; [unrolled: 1-line block ×3, first 2 shown]
	v_fma_f32 v3, v31, v14, -v3
	v_sub_f32_e32 v14, v134, v96
	v_fma_f32 v56, v139, 2.0, -v33
	v_add_co_u32 v76, vcc_lo, v1, v76
	v_fma_f32 v60, v138, 2.0, -v29
	v_fmac_f32_e32 v54, v26, v11
	v_lshlrev_b64_e32 v[85:86], 3, v[100:101]
	s_wait_alu 0xfffd
	v_add_co_ci_u32_e32 v77, vcc_lo, v2, v77, vcc_lo
	v_fma_f32 v37, v135, 2.0, -v17
	v_fma_f32 v39, v136, 2.0, -v19
	;; [unrolled: 1-line block ×5, first 2 shown]
	v_mul_f32_e32 v61, v11, v111
	s_clause 0xb
	global_store_b64 v[42:43], v[89:90], off
	global_store_b64 v[44:45], v[34:35], off
	;; [unrolled: 1-line block ×12, first 2 shown]
	v_fma_f32 v9, v25, v8, -v93
	v_fma_f32 v11, v22, v6, -v95
	v_fma_f32 v25, v27, 2.0, -v13
	v_mad_co_u64_u32 v[27:28], null, s8, v84, 0
	v_mad_co_u64_u32 v[29:30], null, s9, v83, v[0:1]
	v_mov_b32_e32 v105, v91
	v_lshrrev_b32_e32 v34, 2, v141
	v_lshlrev_b64_e32 v[87:88], 3, v[102:103]
	v_add_co_u32 v78, vcc_lo, v1, v78
	s_wait_alu 0xfffd
	v_add_co_ci_u32_e32 v79, vcc_lo, v2, v79, vcc_lo
	v_add_co_u32 v85, vcc_lo, v1, v85
	v_sub_f32_e32 v11, v40, v11
	v_lshlrev_b64_e32 v[32:33], 3, v[104:105]
	v_mad_u32_u24 v36, 0x270, v34, v82
	s_wait_alu 0xfffd
	v_add_co_ci_u32_e32 v86, vcc_lo, v2, v86, vcc_lo
	v_fma_f32 v10, v26, v10, -v61
	v_fma_f32 v26, v134, 2.0, -v14
	v_add_co_u32 v30, vcc_lo, v1, v87
	v_dual_mov_b32 v0, v28 :: v_dual_mov_b32 v107, v29
	v_fma_f32 v24, v133, 2.0, -v12
	v_fma_f32 v23, v40, 2.0, -v11
	s_wait_alu 0xfffd
	v_add_co_ci_u32_e32 v31, vcc_lo, v2, v88, vcc_lo
	v_mad_co_u64_u32 v[34:35], null, s8, v36, 0
	v_add_co_u32 v32, vcc_lo, v1, v32
	v_mad_co_u64_u32 v[28:29], null, s9, v84, v[0:1]
	s_clause 0x2
	global_store_b64 v[78:79], v[25:26], off
	global_store_b64 v[85:86], v[13:14], off
	;; [unrolled: 1-line block ×3, first 2 shown]
	v_lshlrev_b64_e32 v[13:14], 3, v[106:107]
	s_wait_alu 0xfffd
	v_add_co_ci_u32_e32 v33, vcc_lo, v2, v33, vcc_lo
	v_lshrrev_b32_e32 v23, 4, v81
	v_mov_b32_e32 v0, v35
	v_sub_f32_e32 v7, v51, v10
	global_store_b64 v[32:33], v[11:12], off
	v_add_co_u32 v11, vcc_lo, v1, v13
	v_mul_hi_u32 v25, 0x1a41a41b, v23
	s_wait_alu 0xfffd
	v_add_co_ci_u32_e32 v12, vcc_lo, v2, v14, vcc_lo
	v_lshlrev_b64_e32 v[13:14], 3, v[27:28]
	v_dual_sub_f32 v10, v132, v92 :: v_dual_sub_f32 v9, v41, v9
	v_mad_co_u64_u32 v[23:24], null, s9, v36, v[0:1]
	v_lshrrev_b32_e32 v0, 2, v25
	s_delay_alu instid0(VALU_DEP_4) | instskip(NEXT) | instid1(VALU_DEP_4)
	v_add_co_u32 v13, vcc_lo, v1, v13
	v_fma_f32 v22, v132, 2.0, -v10
	v_fma_f32 v21, v41, 2.0, -v9
	v_add_nc_u32_e32 v26, 0x270, v36
	v_lshrrev_b32_e32 v27, 4, v80
	s_wait_alu 0xfffd
	v_add_co_ci_u32_e32 v14, vcc_lo, v2, v14, vcc_lo
	v_mov_b32_e32 v35, v23
	v_mad_u32_u24 v23, 0x270, v0, v81
	v_mad_co_u64_u32 v[24:25], null, s8, v26, 0
	s_clause 0x1
	global_store_b64 v[11:12], v[21:22], off
	global_store_b64 v[13:14], v[9:10], off
	v_mul_hi_u32 v21, 0x1a41a41b, v27
	v_add_nc_u32_e32 v28, 0x270, v23
	v_mad_co_u64_u32 v[11:12], null, s8, v23, 0
	v_lshlrev_b64_e32 v[9:10], 3, v[34:35]
	v_mov_b32_e32 v0, v25
	s_delay_alu instid0(VALU_DEP_4) | instskip(SKIP_2) | instid1(VALU_DEP_4)
	v_mad_co_u64_u32 v[13:14], null, s8, v28, 0
	v_lshrrev_b32_e32 v25, 2, v21
	v_sub_f32_e32 v8, v131, v54
	v_mad_co_u64_u32 v[21:22], null, s9, v26, v[0:1]
	v_add_co_u32 v9, vcc_lo, v1, v9
	s_delay_alu instid0(VALU_DEP_4) | instskip(SKIP_3) | instid1(VALU_DEP_4)
	v_mad_u32_u24 v31, 0x270, v25, v80
	v_mad_co_u64_u32 v[22:23], null, s9, v23, v[12:13]
	v_mov_b32_e32 v0, v14
	v_sub_f32_e32 v6, v130, v20
	v_mad_co_u64_u32 v[26:27], null, s8, v31, 0
	v_add_nc_u32_e32 v23, 0x270, v31
	s_delay_alu instid0(VALU_DEP_4) | instskip(SKIP_2) | instid1(VALU_DEP_4)
	v_mad_co_u64_u32 v[28:29], null, s9, v28, v[0:1]
	v_fma_f32 v20, v131, 2.0, -v8
	v_fma_f32 v19, v51, 2.0, -v7
	v_mad_co_u64_u32 v[29:30], null, s8, v23, 0
	s_wait_alu 0xfffd
	v_add_co_ci_u32_e32 v10, vcc_lo, v2, v10, vcc_lo
	v_dual_mov_b32 v0, v27 :: v_dual_mov_b32 v25, v21
	v_mov_b32_e32 v12, v22
	global_store_b64 v[9:10], v[19:20], off
	v_dual_sub_f32 v3, v53, v3 :: v_dual_mov_b32 v14, v28
	v_mad_co_u64_u32 v[19:20], null, s9, v31, v[0:1]
	v_mov_b32_e32 v0, v30
	v_lshlrev_b64_e32 v[9:10], 3, v[24:25]
	v_lshlrev_b64_e32 v[11:12], 3, v[11:12]
	v_lshlrev_b64_e32 v[13:14], 3, v[13:14]
	v_fma_f32 v18, v130, 2.0, -v6
	v_mad_co_u64_u32 v[20:21], null, s9, v23, v[0:1]
	v_mov_b32_e32 v27, v19
	v_add_co_u32 v9, vcc_lo, v1, v9
	s_wait_alu 0xfffd
	v_add_co_ci_u32_e32 v10, vcc_lo, v2, v10, vcc_lo
	v_add_co_u32 v11, vcc_lo, v1, v11
	v_mov_b32_e32 v30, v20
	v_lshlrev_b64_e32 v[21:22], 3, v[26:27]
	s_wait_alu 0xfffd
	v_add_co_ci_u32_e32 v12, vcc_lo, v2, v12, vcc_lo
	v_add_co_u32 v13, vcc_lo, v1, v13
	v_lshlrev_b64_e32 v[19:20], 3, v[29:30]
	s_wait_alu 0xfffd
	v_add_co_ci_u32_e32 v14, vcc_lo, v2, v14, vcc_lo
	v_add_co_u32 v21, vcc_lo, v1, v21
	v_fma_f32 v17, v52, 2.0, -v5
	s_wait_alu 0xfffd
	v_add_co_ci_u32_e32 v22, vcc_lo, v2, v22, vcc_lo
	v_add_co_u32 v0, vcc_lo, v1, v19
	v_fma_f32 v16, v129, 2.0, -v4
	v_fma_f32 v15, v53, 2.0, -v3
	s_wait_alu 0xfffd
	v_add_co_ci_u32_e32 v1, vcc_lo, v2, v20, vcc_lo
	s_clause 0x4
	global_store_b64 v[9:10], v[7:8], off
	global_store_b64 v[11:12], v[17:18], off
	;; [unrolled: 1-line block ×5, first 2 shown]
.LBB0_23:
	s_nop 0
	s_sendmsg sendmsg(MSG_DEALLOC_VGPRS)
	s_endpgm
	.section	.rodata,"a",@progbits
	.p2align	6, 0x0
	.amdhsa_kernel fft_rtc_fwd_len1248_factors_2_2_13_2_3_2_2_wgs_52_tpt_52_halfLds_sp_ip_CI_sbrr_dirReg
		.amdhsa_group_segment_fixed_size 0
		.amdhsa_private_segment_fixed_size 0
		.amdhsa_kernarg_size 88
		.amdhsa_user_sgpr_count 2
		.amdhsa_user_sgpr_dispatch_ptr 0
		.amdhsa_user_sgpr_queue_ptr 0
		.amdhsa_user_sgpr_kernarg_segment_ptr 1
		.amdhsa_user_sgpr_dispatch_id 0
		.amdhsa_user_sgpr_private_segment_size 0
		.amdhsa_wavefront_size32 1
		.amdhsa_uses_dynamic_stack 0
		.amdhsa_enable_private_segment 0
		.amdhsa_system_sgpr_workgroup_id_x 1
		.amdhsa_system_sgpr_workgroup_id_y 0
		.amdhsa_system_sgpr_workgroup_id_z 0
		.amdhsa_system_sgpr_workgroup_info 0
		.amdhsa_system_vgpr_workitem_id 0
		.amdhsa_next_free_vgpr 186
		.amdhsa_next_free_sgpr 35
		.amdhsa_reserve_vcc 1
		.amdhsa_float_round_mode_32 0
		.amdhsa_float_round_mode_16_64 0
		.amdhsa_float_denorm_mode_32 3
		.amdhsa_float_denorm_mode_16_64 3
		.amdhsa_fp16_overflow 0
		.amdhsa_workgroup_processor_mode 1
		.amdhsa_memory_ordered 1
		.amdhsa_forward_progress 0
		.amdhsa_round_robin_scheduling 0
		.amdhsa_exception_fp_ieee_invalid_op 0
		.amdhsa_exception_fp_denorm_src 0
		.amdhsa_exception_fp_ieee_div_zero 0
		.amdhsa_exception_fp_ieee_overflow 0
		.amdhsa_exception_fp_ieee_underflow 0
		.amdhsa_exception_fp_ieee_inexact 0
		.amdhsa_exception_int_div_zero 0
	.end_amdhsa_kernel
	.text
.Lfunc_end0:
	.size	fft_rtc_fwd_len1248_factors_2_2_13_2_3_2_2_wgs_52_tpt_52_halfLds_sp_ip_CI_sbrr_dirReg, .Lfunc_end0-fft_rtc_fwd_len1248_factors_2_2_13_2_3_2_2_wgs_52_tpt_52_halfLds_sp_ip_CI_sbrr_dirReg
                                        ; -- End function
	.section	.AMDGPU.csdata,"",@progbits
; Kernel info:
; codeLenInByte = 21252
; NumSgprs: 37
; NumVgprs: 186
; ScratchSize: 0
; MemoryBound: 0
; FloatMode: 240
; IeeeMode: 1
; LDSByteSize: 0 bytes/workgroup (compile time only)
; SGPRBlocks: 4
; VGPRBlocks: 23
; NumSGPRsForWavesPerEU: 37
; NumVGPRsForWavesPerEU: 186
; Occupancy: 8
; WaveLimiterHint : 1
; COMPUTE_PGM_RSRC2:SCRATCH_EN: 0
; COMPUTE_PGM_RSRC2:USER_SGPR: 2
; COMPUTE_PGM_RSRC2:TRAP_HANDLER: 0
; COMPUTE_PGM_RSRC2:TGID_X_EN: 1
; COMPUTE_PGM_RSRC2:TGID_Y_EN: 0
; COMPUTE_PGM_RSRC2:TGID_Z_EN: 0
; COMPUTE_PGM_RSRC2:TIDIG_COMP_CNT: 0
	.text
	.p2alignl 7, 3214868480
	.fill 96, 4, 3214868480
	.type	__hip_cuid_73817187788a140a,@object ; @__hip_cuid_73817187788a140a
	.section	.bss,"aw",@nobits
	.globl	__hip_cuid_73817187788a140a
__hip_cuid_73817187788a140a:
	.byte	0                               ; 0x0
	.size	__hip_cuid_73817187788a140a, 1

	.ident	"AMD clang version 19.0.0git (https://github.com/RadeonOpenCompute/llvm-project roc-6.4.0 25133 c7fe45cf4b819c5991fe208aaa96edf142730f1d)"
	.section	".note.GNU-stack","",@progbits
	.addrsig
	.addrsig_sym __hip_cuid_73817187788a140a
	.amdgpu_metadata
---
amdhsa.kernels:
  - .args:
      - .actual_access:  read_only
        .address_space:  global
        .offset:         0
        .size:           8
        .value_kind:     global_buffer
      - .offset:         8
        .size:           8
        .value_kind:     by_value
      - .actual_access:  read_only
        .address_space:  global
        .offset:         16
        .size:           8
        .value_kind:     global_buffer
      - .actual_access:  read_only
        .address_space:  global
        .offset:         24
        .size:           8
        .value_kind:     global_buffer
      - .offset:         32
        .size:           8
        .value_kind:     by_value
      - .actual_access:  read_only
        .address_space:  global
        .offset:         40
        .size:           8
        .value_kind:     global_buffer
      - .actual_access:  read_only
        .address_space:  global
        .offset:         48
        .size:           8
        .value_kind:     global_buffer
      - .offset:         56
        .size:           4
        .value_kind:     by_value
      - .actual_access:  read_only
        .address_space:  global
        .offset:         64
        .size:           8
        .value_kind:     global_buffer
      - .actual_access:  read_only
        .address_space:  global
        .offset:         72
        .size:           8
        .value_kind:     global_buffer
      - .address_space:  global
        .offset:         80
        .size:           8
        .value_kind:     global_buffer
    .group_segment_fixed_size: 0
    .kernarg_segment_align: 8
    .kernarg_segment_size: 88
    .language:       OpenCL C
    .language_version:
      - 2
      - 0
    .max_flat_workgroup_size: 52
    .name:           fft_rtc_fwd_len1248_factors_2_2_13_2_3_2_2_wgs_52_tpt_52_halfLds_sp_ip_CI_sbrr_dirReg
    .private_segment_fixed_size: 0
    .sgpr_count:     37
    .sgpr_spill_count: 0
    .symbol:         fft_rtc_fwd_len1248_factors_2_2_13_2_3_2_2_wgs_52_tpt_52_halfLds_sp_ip_CI_sbrr_dirReg.kd
    .uniform_work_group_size: 1
    .uses_dynamic_stack: false
    .vgpr_count:     186
    .vgpr_spill_count: 0
    .wavefront_size: 32
    .workgroup_processor_mode: 1
amdhsa.target:   amdgcn-amd-amdhsa--gfx1201
amdhsa.version:
  - 1
  - 2
...

	.end_amdgpu_metadata
